;; amdgpu-corpus repo=ROCm/rocFFT kind=compiled arch=gfx1030 opt=O3
	.text
	.amdgcn_target "amdgcn-amd-amdhsa--gfx1030"
	.amdhsa_code_object_version 6
	.protected	bluestein_single_back_len650_dim1_dp_op_CI_CI ; -- Begin function bluestein_single_back_len650_dim1_dp_op_CI_CI
	.globl	bluestein_single_back_len650_dim1_dp_op_CI_CI
	.p2align	8
	.type	bluestein_single_back_len650_dim1_dp_op_CI_CI,@function
bluestein_single_back_len650_dim1_dp_op_CI_CI: ; @bluestein_single_back_len650_dim1_dp_op_CI_CI
; %bb.0:
	s_load_dwordx4 s[12:15], s[4:5], 0x28
	v_mul_u32_u24_e32 v1, 0x3f1, v0
	s_mov_b64 s[46:47], s[2:3]
	s_mov_b64 s[44:45], s[0:1]
	s_mov_b32 s0, exec_lo
	s_add_u32 s44, s44, s7
	v_lshrrev_b32_e32 v1, 16, v1
	s_addc_u32 s45, s45, 0
	v_mad_u64_u32 v[172:173], null, s6, 3, v[1:2]
	v_mov_b32_e32 v173, 0
	s_waitcnt lgkmcnt(0)
	v_cmpx_gt_u64_e64 s[12:13], v[172:173]
	s_cbranch_execz .LBB0_10
; %bb.1:
	s_clause 0x1
	s_load_dwordx4 s[8:11], s[4:5], 0x18
	s_load_dwordx4 s[0:3], s[4:5], 0x0
	v_mul_lo_u16 v1, 0x41, v1
	s_mov_b32 s12, 0x4755a5e
	s_mov_b32 s13, 0x3fe2cf23
	s_load_dwordx2 s[4:5], s[4:5], 0x38
                                        ; implicit-def: $vgpr160_vgpr161
                                        ; implicit-def: $vgpr164_vgpr165
                                        ; implicit-def: $vgpr168_vgpr169
	v_sub_nc_u16 v0, v0, v1
	v_and_b32_e32 v239, 0xffff, v0
	v_lshlrev_b32_e32 v25, 4, v239
	s_waitcnt lgkmcnt(0)
	s_load_dwordx4 s[16:19], s[8:9], 0x0
	s_clause 0x1
	global_load_dwordx4 v[240:243], v25, s[0:1]
	global_load_dwordx4 v[247:250], v25, s[0:1] offset:1040
	v_add_co_u32 v26, s6, s0, v25
	v_add_co_ci_u32_e64 v27, null, s1, 0, s6
	s_waitcnt lgkmcnt(0)
	v_mad_u64_u32 v[1:2], null, s18, v172, 0
	v_mad_u64_u32 v[3:4], null, s16, v239, 0
	s_mul_i32 s0, s17, 0x410
	s_mul_hi_u32 s1, s16, 0x410
	s_mul_i32 s6, s16, 0x410
	s_add_i32 s1, s1, s0
	s_mov_b32 s16, s12
	v_mad_u64_u32 v[5:6], null, s19, v172, v[2:3]
	v_add_co_u32 v6, vcc_lo, 0x800, v26
	v_add_co_ci_u32_e32 v7, vcc_lo, 0, v27, vcc_lo
	s_clause 0x1
	global_load_dwordx4 v[104:107], v[6:7], off offset:32
	global_load_dwordx4 v[100:103], v[6:7], off offset:1072
	v_mad_u64_u32 v[8:9], null, s17, v239, v[4:5]
	v_mov_b32_e32 v2, v5
	v_add_co_u32 v9, vcc_lo, 0x1000, v26
	v_add_co_ci_u32_e32 v10, vcc_lo, 0, v27, vcc_lo
	v_add_co_u32 v11, vcc_lo, 0x1800, v26
	v_mov_b32_e32 v4, v8
	v_lshlrev_b64 v[1:2], 4, v[1:2]
	v_add_co_ci_u32_e32 v12, vcc_lo, 0, v27, vcc_lo
	v_add_co_u32 v36, vcc_lo, 0x2000, v26
	v_add_co_ci_u32_e32 v37, vcc_lo, 0, v27, vcc_lo
	v_lshlrev_b64 v[3:4], 4, v[3:4]
	v_add_co_u32 v1, vcc_lo, s14, v1
	v_add_co_ci_u32_e32 v2, vcc_lo, s15, v2, vcc_lo
	s_clause 0x1
	global_load_dwordx4 v[96:99], v[9:10], off offset:64
	global_load_dwordx4 v[92:95], v[9:10], off offset:1104
	v_add_co_u32 v1, vcc_lo, v1, v3
	v_add_co_ci_u32_e32 v2, vcc_lo, v2, v4, vcc_lo
	s_clause 0x1
	global_load_dwordx4 v[221:224], v[11:12], off offset:96
	global_load_dwordx4 v[251:254], v[11:12], off offset:1136
	v_add_co_u32 v13, vcc_lo, v1, s6
	v_add_co_ci_u32_e32 v14, vcc_lo, s1, v2, vcc_lo
	global_load_dwordx4 v[1:4], v[1:2], off
	v_add_co_u32 v15, vcc_lo, v13, s6
	v_add_co_ci_u32_e32 v16, vcc_lo, s1, v14, vcc_lo
	s_clause 0x1
	global_load_dwordx4 v[5:8], v[13:14], off
	global_load_dwordx4 v[9:12], v[15:16], off
	v_add_co_u32 v17, vcc_lo, v15, s6
	v_add_co_ci_u32_e32 v18, vcc_lo, s1, v16, vcc_lo
	s_mov_b32 s15, 0xbfee6f0e
	v_add_co_u32 v19, vcc_lo, v17, s6
	v_add_co_ci_u32_e32 v20, vcc_lo, s1, v18, vcc_lo
	s_mov_b32 s17, 0xbfe2cf23
	v_add_co_u32 v21, vcc_lo, v19, s6
	v_add_co_ci_u32_e32 v22, vcc_lo, s1, v20, vcc_lo
	s_clause 0x1
	global_load_dwordx4 v[13:16], v[17:18], off
	global_load_dwordx4 v[17:20], v[19:20], off
	v_add_co_u32 v28, vcc_lo, v21, s6
	v_add_co_ci_u32_e32 v29, vcc_lo, s1, v22, vcc_lo
	global_load_dwordx4 v[21:24], v[21:22], off
	v_add_co_u32 v32, vcc_lo, v28, s6
	v_add_co_ci_u32_e32 v33, vcc_lo, s1, v29, vcc_lo
	;; [unrolled: 3-line block ×3, first 2 shown]
	s_mov_b32 s18, 0x9b97f4a8
	v_add_co_u32 v48, vcc_lo, v34, s6
	v_add_co_ci_u32_e32 v49, vcc_lo, s1, v35, vcc_lo
	global_load_dwordx4 v[40:43], v[32:33], off
	global_load_dwordx4 v[44:47], v[34:35], off
	s_clause 0x1
	global_load_dwordx4 v[108:111], v[36:37], off offset:128
	global_load_dwordx4 v[33:36], v[36:37], off offset:1168
	global_load_dwordx4 v[48:51], v[48:49], off
	v_mul_hi_u32 v32, 0xaaaaaaab, v172
	s_mov_b32 s6, 0x134454ff
	s_mov_b32 s7, 0x3fee6f0e
	s_mov_b32 s14, s6
	s_mov_b32 s0, 0x372fe950
	s_mov_b32 s1, 0x3fd3c6ef
	s_mov_b32 s19, 0x3fe9e377
	v_cmp_gt_u16_e32 vcc_lo, 50, v0
	v_lshrrev_b32_e32 v32, 1, v32
	v_lshl_add_u32 v32, v32, 1, v32
	v_sub_nc_u32_e32 v32, v172, v32
	v_mul_u32_u24_e32 v32, 0x28a, v32
	v_lshlrev_b32_e32 v244, 4, v32
	v_add_nc_u16 v32, v0, 0x41
	v_add_nc_u32_e32 v255, v25, v244
	v_and_b32_e32 v25, 0xff, v0
	v_mul_lo_u16 v25, 0xcd, v25
	v_lshrrev_b16 v25, 11, v25
	s_waitcnt vmcnt(11)
	v_mul_f64 v[52:53], v[3:4], v[242:243]
	v_mul_f64 v[54:55], v[1:2], v[242:243]
	s_waitcnt vmcnt(10)
	v_mul_f64 v[56:57], v[7:8], v[249:250]
	s_waitcnt vmcnt(9)
	v_mul_f64 v[60:61], v[11:12], v[106:107]
	v_mul_f64 v[62:63], v[9:10], v[106:107]
	;; [unrolled: 1-line block ×3, first 2 shown]
	s_waitcnt vmcnt(8)
	v_mul_f64 v[64:65], v[15:16], v[102:103]
	s_waitcnt vmcnt(7)
	v_mul_f64 v[68:69], v[19:20], v[98:99]
	v_mul_f64 v[66:67], v[13:14], v[102:103]
	;; [unrolled: 1-line block ×3, first 2 shown]
	v_fma_f64 v[1:2], v[1:2], v[240:241], v[52:53]
	v_fma_f64 v[3:4], v[3:4], v[240:241], -v[54:55]
	s_waitcnt vmcnt(6)
	v_mul_f64 v[72:73], v[23:24], v[94:95]
	v_mul_f64 v[74:75], v[21:22], v[94:95]
	v_fma_f64 v[9:10], v[9:10], v[104:105], v[60:61]
	buffer_store_dword v104, off, s[44:47], 0 offset:48 ; 4-byte Folded Spill
	buffer_store_dword v105, off, s[44:47], 0 offset:52 ; 4-byte Folded Spill
	;; [unrolled: 1-line block ×4, first 2 shown]
	v_fma_f64 v[5:6], v[5:6], v[247:248], v[56:57]
	s_waitcnt vmcnt(5)
	v_mul_f64 v[76:77], v[30:31], v[223:224]
	v_mul_f64 v[78:79], v[28:29], v[223:224]
	v_fma_f64 v[7:8], v[7:8], v[247:248], -v[58:59]
	s_waitcnt vmcnt(4)
	v_mul_f64 v[80:81], v[42:43], v[253:254]
	v_mul_f64 v[82:83], v[40:41], v[253:254]
	s_waitcnt vmcnt(2)
	v_mul_f64 v[84:85], v[46:47], v[110:111]
	v_mul_f64 v[86:87], v[44:45], v[110:111]
	s_waitcnt vmcnt(0)
	v_mul_f64 v[88:89], v[50:51], v[35:36]
	v_fma_f64 v[13:14], v[13:14], v[100:101], v[64:65]
	buffer_store_dword v100, off, s[44:47], 0 offset:32 ; 4-byte Folded Spill
	buffer_store_dword v101, off, s[44:47], 0 offset:36 ; 4-byte Folded Spill
	;; [unrolled: 1-line block ×4, first 2 shown]
	v_fma_f64 v[17:18], v[17:18], v[96:97], v[68:69]
	buffer_store_dword v96, off, s[44:47], 0 offset:16 ; 4-byte Folded Spill
	buffer_store_dword v97, off, s[44:47], 0 offset:20 ; 4-byte Folded Spill
	;; [unrolled: 1-line block ×4, first 2 shown]
	v_mul_f64 v[90:91], v[48:49], v[35:36]
	v_fma_f64 v[21:22], v[21:22], v[92:93], v[72:73]
	buffer_store_dword v92, off, s[44:47], 0 ; 4-byte Folded Spill
	buffer_store_dword v93, off, s[44:47], 0 offset:4 ; 4-byte Folded Spill
	buffer_store_dword v94, off, s[44:47], 0 offset:8 ; 4-byte Folded Spill
	;; [unrolled: 1-line block ×3, first 2 shown]
	v_fma_f64 v[28:29], v[28:29], v[221:222], v[76:77]
	v_fma_f64 v[30:31], v[30:31], v[221:222], -v[78:79]
	v_fma_f64 v[40:41], v[40:41], v[251:252], v[80:81]
	v_fma_f64 v[42:43], v[42:43], v[251:252], -v[82:83]
	v_fma_f64 v[44:45], v[44:45], v[108:109], v[84:85]
	buffer_store_dword v108, off, s[44:47], 0 offset:64 ; 4-byte Folded Spill
	buffer_store_dword v109, off, s[44:47], 0 offset:68 ; 4-byte Folded Spill
	;; [unrolled: 1-line block ×4, first 2 shown]
	v_fma_f64 v[48:49], v[48:49], v[33:34], v[88:89]
	buffer_store_dword v33, off, s[44:47], 0 offset:80 ; 4-byte Folded Spill
	buffer_store_dword v34, off, s[44:47], 0 offset:84 ; 4-byte Folded Spill
	;; [unrolled: 1-line block ×4, first 2 shown]
	s_load_dwordx4 s[8:11], s[10:11], 0x0
	v_fma_f64 v[11:12], v[11:12], v[104:105], -v[62:63]
	v_fma_f64 v[15:16], v[15:16], v[100:101], -v[66:67]
	;; [unrolled: 1-line block ×6, first 2 shown]
	ds_write_b128 v255, v[1:4]
	ds_write_b128 v255, v[5:8] offset:1040
	ds_write_b128 v255, v[9:12] offset:2080
	;; [unrolled: 1-line block ×9, first 2 shown]
	s_waitcnt lgkmcnt(0)
	s_waitcnt_vscnt null, 0x0
	s_barrier
	buffer_gl0_inv
	ds_read_b128 v[48:51], v255 offset:5200
	ds_read_b128 v[44:47], v255 offset:7280
	;; [unrolled: 1-line block ×6, first 2 shown]
	ds_read_b128 v[68:71], v255
	ds_read_b128 v[60:63], v255 offset:6240
	ds_read_b128 v[56:59], v255 offset:8320
	;; [unrolled: 1-line block ×3, first 2 shown]
	v_and_b32_e32 v33, 0xff, v32
	v_mul_lo_u16 v34, v25, 10
	s_waitcnt lgkmcnt(0)
	s_barrier
	buffer_gl0_inv
	v_add_f64 v[5:6], v[48:49], v[44:45]
	v_add_f64 v[11:12], v[50:51], v[46:47]
	;; [unrolled: 1-line block ×4, first 2 shown]
	v_add_f64 v[23:24], v[54:55], -v[42:43]
	v_add_f64 v[28:29], v[50:51], -v[46:47]
	;; [unrolled: 1-line block ×4, first 2 shown]
	v_add_f64 v[15:16], v[64:65], v[60:61]
	v_add_f64 v[21:22], v[72:73], v[56:57]
	;; [unrolled: 1-line block ×3, first 2 shown]
	v_add_f64 v[86:87], v[52:53], -v[48:49]
	v_add_f64 v[88:89], v[40:41], -v[44:45]
	v_add_f64 v[84:85], v[74:75], v[58:59]
	v_add_f64 v[90:91], v[48:49], -v[52:53]
	v_add_f64 v[92:93], v[44:45], -v[40:41]
	;; [unrolled: 1-line block ×4, first 2 shown]
	v_add_f64 v[13:14], v[68:69], v[72:73]
	v_add_f64 v[78:79], v[70:71], v[74:75]
	v_add_f64 v[17:18], v[74:75], -v[58:59]
	v_add_f64 v[19:20], v[72:73], -v[64:65]
	v_fma_f64 v[5:6], v[5:6], -0.5, v[1:2]
	v_fma_f64 v[11:12], v[11:12], -0.5, v[3:4]
	;; [unrolled: 1-line block ×4, first 2 shown]
	v_add_f64 v[1:2], v[1:2], v[52:53]
	v_add_f64 v[3:4], v[3:4], v[54:55]
	v_add_f64 v[52:53], v[54:55], -v[50:51]
	v_add_f64 v[54:55], v[50:51], -v[54:55]
	;; [unrolled: 1-line block ×5, first 2 shown]
	v_fma_f64 v[15:16], v[15:16], -0.5, v[68:69]
	v_fma_f64 v[21:22], v[21:22], -0.5, v[68:69]
	;; [unrolled: 1-line block ×3, first 2 shown]
	v_add_f64 v[80:81], v[86:87], v[88:89]
	v_add_f64 v[110:111], v[60:61], -v[56:57]
	v_add_f64 v[114:115], v[64:65], -v[60:61]
	v_fma_f64 v[70:71], v[84:85], -0.5, v[70:71]
	v_add_f64 v[84:85], v[90:91], v[92:93]
	v_add_f64 v[13:14], v[13:14], v[64:65]
	;; [unrolled: 1-line block ×3, first 2 shown]
	v_add_f64 v[94:95], v[74:75], -v[66:67]
	v_fma_f64 v[100:101], v[23:24], s[6:7], v[5:6]
	v_fma_f64 v[5:6], v[23:24], s[14:15], v[5:6]
	;; [unrolled: 1-line block ×8, first 2 shown]
	v_add_f64 v[54:55], v[54:55], v[98:99]
	v_add_f64 v[52:53], v[52:53], v[96:97]
	;; [unrolled: 1-line block ×4, first 2 shown]
	v_add_f64 v[74:75], v[66:67], -v[74:75]
	v_add_f64 v[106:107], v[56:57], -v[60:61]
	;; [unrolled: 1-line block ×3, first 2 shown]
	v_fma_f64 v[48:49], v[17:18], s[6:7], v[15:16]
	v_fma_f64 v[50:51], v[112:113], s[14:15], v[21:22]
	;; [unrolled: 1-line block ×5, first 2 shown]
	v_add_f64 v[118:119], v[62:63], -v[58:59]
	v_fma_f64 v[15:16], v[17:18], s[14:15], v[15:16]
	v_fma_f64 v[86:87], v[28:29], s[12:13], v[100:101]
	;; [unrolled: 1-line block ×9, first 2 shown]
	v_add_f64 v[28:29], v[76:77], v[110:111]
	v_fma_f64 v[76:77], v[114:115], s[6:7], v[70:71]
	v_fma_f64 v[70:71], v[114:115], s[14:15], v[70:71]
	v_add_f64 v[13:14], v[13:14], v[60:61]
	v_add_f64 v[60:61], v[64:65], v[62:63]
	;; [unrolled: 1-line block ×5, first 2 shown]
	v_fma_f64 v[44:45], v[112:113], s[12:13], v[48:49]
	v_fma_f64 v[46:47], v[17:18], s[12:13], v[50:51]
	;; [unrolled: 1-line block ×13, first 2 shown]
	v_add_f64 v[80:81], v[94:95], v[116:117]
	v_fma_f64 v[11:12], v[52:53], s[0:1], v[11:12]
	v_add_f64 v[54:55], v[74:75], v[118:119]
	v_fma_f64 v[50:51], v[72:73], s[16:17], v[76:77]
	v_fma_f64 v[62:63], v[72:73], s[12:13], v[70:71]
	v_add_f64 v[13:14], v[13:14], v[56:57]
	v_add_f64 v[56:57], v[60:61], v[58:59]
	;; [unrolled: 1-line block ×4, first 2 shown]
	v_fma_f64 v[44:45], v[19:20], s[0:1], v[44:45]
	v_fma_f64 v[46:47], v[28:29], s[0:1], v[46:47]
	;; [unrolled: 1-line block ×3, first 2 shown]
	v_mul_lo_u16 v1, 0xcd, v33
	v_mul_lo_u16 v33, v0, 10
	v_fma_f64 v[58:59], v[19:20], s[0:1], v[15:16]
	v_mul_f64 v[52:53], v[30:31], s[18:19]
	v_mul_f64 v[30:31], v[30:31], s[16:17]
	;; [unrolled: 1-line block ×8, first 2 shown]
	v_fma_f64 v[60:61], v[80:81], s[0:1], v[21:22]
	v_fma_f64 v[76:77], v[80:81], s[0:1], v[48:49]
	v_fma_f64 v[50:51], v[54:55], s[0:1], v[50:51]
	v_fma_f64 v[54:55], v[54:55], s[0:1], v[62:63]
	v_lshrrev_b16 v35, 11, v1
	v_add_f64 v[1:2], v[13:14], v[40:41]
	v_add_f64 v[3:4], v[56:57], v[42:43]
	v_fma_f64 v[48:49], v[11:12], s[12:13], v[52:53]
	v_fma_f64 v[30:31], v[11:12], s[18:19], v[30:31]
	;; [unrolled: 1-line block ×3, first 2 shown]
	v_fma_f64 v[62:63], v[7:8], s[6:7], -v[66:67]
	v_fma_f64 v[66:67], v[78:79], s[0:1], v[70:71]
	v_fma_f64 v[64:65], v[23:24], s[12:13], -v[68:69]
	v_fma_f64 v[68:69], v[82:83], s[14:15], -v[72:73]
	;; [unrolled: 1-line block ×3, first 2 shown]
	v_add_f64 v[5:6], v[13:14], -v[40:41]
	v_add_f64 v[7:8], v[56:57], -v[42:43]
	v_add_f64 v[9:10], v[44:45], v[48:49]
	v_add_f64 v[11:12], v[60:61], v[30:31]
	;; [unrolled: 1-line block ×8, first 2 shown]
	v_add_f64 v[40:41], v[44:45], -v[48:49]
	v_add_f64 v[42:43], v[60:61], -v[30:31]
	;; [unrolled: 1-line block ×8, first 2 shown]
	v_and_b32_e32 v28, 0xffff, v33
	v_mul_lo_u16 v30, v35, 10
	v_mov_b32_e32 v29, 6
	v_sub_nc_u16 v31, v0, v34
	v_lshl_add_u32 v28, v28, 4, v244
	v_sub_nc_u16 v32, v32, v30
	ds_write_b128 v28, v[1:4]
	ds_write_b128 v28, v[5:8] offset:80
	ds_write_b128 v28, v[9:12] offset:16
	;; [unrolled: 1-line block ×9, first 2 shown]
	v_lshlrev_b32_sdwa v33, v29, v31 dst_sel:DWORD dst_unused:UNUSED_PAD src0_sel:DWORD src1_sel:BYTE_0
	v_lshlrev_b32_sdwa v1, v29, v32 dst_sel:DWORD dst_unused:UNUSED_PAD src0_sel:DWORD src1_sel:BYTE_0
	s_waitcnt lgkmcnt(0)
	s_barrier
	buffer_gl0_inv
	s_clause 0x7
	global_load_dwordx4 v[48:51], v33, s[2:3] offset:16
	global_load_dwordx4 v[40:43], v33, s[2:3] offset:32
	global_load_dwordx4 v[52:55], v33, s[2:3]
	global_load_dwordx4 v[44:47], v33, s[2:3] offset:48
	global_load_dwordx4 v[68:71], v1, s[2:3]
	global_load_dwordx4 v[64:67], v1, s[2:3] offset:16
	global_load_dwordx4 v[60:63], v1, s[2:3] offset:32
	;; [unrolled: 1-line block ×3, first 2 shown]
	ds_read_b128 v[1:4], v255 offset:4160
	ds_read_b128 v[5:8], v255 offset:6240
	;; [unrolled: 1-line block ×8, first 2 shown]
	v_mov_b32_e32 v33, 50
	v_mul_u32_u24_sdwa v25, v25, v33 dst_sel:DWORD dst_unused:UNUSED_PAD src0_sel:WORD_0 src1_sel:DWORD
	v_mul_u32_u24_sdwa v33, v35, v33 dst_sel:DWORD dst_unused:UNUSED_PAD src0_sel:WORD_0 src1_sel:DWORD
	s_waitcnt vmcnt(7) lgkmcnt(7)
	v_mul_f64 v[29:30], v[3:4], v[50:51]
	s_waitcnt vmcnt(6) lgkmcnt(6)
	v_mul_f64 v[80:81], v[7:8], v[42:43]
	;; [unrolled: 2-line block ×4, first 2 shown]
	v_mul_f64 v[86:87], v[11:12], v[54:55]
	v_mul_f64 v[88:89], v[15:16], v[46:47]
	;; [unrolled: 1-line block ×4, first 2 shown]
	s_waitcnt vmcnt(3) lgkmcnt(3)
	v_mul_f64 v[94:95], v[19:20], v[70:71]
	v_mul_f64 v[96:97], v[17:18], v[70:71]
	s_waitcnt vmcnt(2) lgkmcnt(2)
	v_mul_f64 v[98:99], v[23:24], v[66:67]
	v_mul_f64 v[100:101], v[21:22], v[66:67]
	s_waitcnt vmcnt(1) lgkmcnt(1)
	v_mul_f64 v[102:103], v[74:75], v[62:63]
	s_waitcnt vmcnt(0) lgkmcnt(0)
	v_mul_f64 v[104:105], v[78:79], v[58:59]
	v_mul_f64 v[106:107], v[72:73], v[62:63]
	;; [unrolled: 1-line block ×3, first 2 shown]
	v_fma_f64 v[29:30], v[1:2], v[48:49], -v[29:30]
	v_fma_f64 v[80:81], v[5:6], v[40:41], -v[80:81]
	v_fma_f64 v[11:12], v[11:12], v[52:53], v[82:83]
	v_fma_f64 v[15:16], v[15:16], v[44:45], v[84:85]
	v_fma_f64 v[9:10], v[9:10], v[52:53], -v[86:87]
	v_fma_f64 v[13:14], v[13:14], v[44:45], -v[88:89]
	v_fma_f64 v[82:83], v[3:4], v[48:49], v[90:91]
	v_fma_f64 v[84:85], v[7:8], v[40:41], v[92:93]
	v_fma_f64 v[17:18], v[17:18], v[68:69], -v[94:95]
	v_fma_f64 v[19:20], v[19:20], v[68:69], v[96:97]
	v_fma_f64 v[21:22], v[21:22], v[64:65], -v[98:99]
	;; [unrolled: 2-line block ×3, first 2 shown]
	v_fma_f64 v[76:77], v[76:77], v[56:57], -v[104:105]
	v_fma_f64 v[74:75], v[74:75], v[60:61], v[106:107]
	v_fma_f64 v[78:79], v[78:79], v[56:57], v[108:109]
	ds_read_b128 v[1:4], v255
	ds_read_b128 v[5:8], v255 offset:1040
	s_waitcnt lgkmcnt(0)
	s_barrier
	buffer_gl0_inv
	v_add_f64 v[86:87], v[29:30], v[80:81]
	v_add_f64 v[104:105], v[29:30], -v[80:81]
	v_add_f64 v[108:109], v[11:12], v[15:16]
	v_add_f64 v[90:91], v[9:10], -v[29:30]
	v_add_f64 v[92:93], v[13:14], -v[80:81]
	;; [unrolled: 1-line block ×4, first 2 shown]
	v_add_f64 v[100:101], v[82:83], v[84:85]
	v_add_f64 v[106:107], v[9:10], v[13:14]
	v_add_f64 v[88:89], v[11:12], -v[15:16]
	v_add_f64 v[98:99], v[82:83], -v[84:85]
	v_add_f64 v[114:115], v[21:22], v[72:73]
	v_add_f64 v[116:117], v[17:18], v[76:77]
	;; [unrolled: 1-line block ×4, first 2 shown]
	v_add_f64 v[102:103], v[9:10], -v[13:14]
	v_add_f64 v[110:111], v[1:2], v[9:10]
	v_add_f64 v[112:113], v[3:4], v[11:12]
	v_add_f64 v[9:10], v[29:30], -v[9:10]
	v_add_f64 v[122:123], v[5:6], v[17:18]
	v_add_f64 v[124:125], v[7:8], v[19:20]
	v_add_f64 v[126:127], v[80:81], -v[13:14]
	v_add_f64 v[130:131], v[19:20], -v[78:79]
	;; [unrolled: 1-line block ×5, first 2 shown]
	v_fma_f64 v[86:87], v[86:87], -0.5, v[1:2]
	v_add_f64 v[17:18], v[17:18], -v[76:77]
	v_add_f64 v[90:91], v[90:91], v[92:93]
	v_fma_f64 v[100:101], v[100:101], -0.5, v[3:4]
	v_fma_f64 v[1:2], v[106:107], -0.5, v[1:2]
	;; [unrolled: 1-line block ×3, first 2 shown]
	v_add_f64 v[106:107], v[21:22], -v[72:73]
	v_fma_f64 v[108:109], v[114:115], -0.5, v[5:6]
	v_fma_f64 v[5:6], v[116:117], -0.5, v[5:6]
	v_add_f64 v[92:93], v[94:95], v[96:97]
	v_fma_f64 v[94:95], v[118:119], -0.5, v[7:8]
	v_fma_f64 v[7:8], v[120:121], -0.5, v[7:8]
	v_add_f64 v[11:12], v[82:83], -v[11:12]
	v_add_f64 v[128:129], v[84:85], -v[15:16]
	;; [unrolled: 1-line block ×8, first 2 shown]
	v_add_f64 v[29:30], v[110:111], v[29:30]
	v_add_f64 v[82:83], v[112:113], v[82:83]
	;; [unrolled: 1-line block ×5, first 2 shown]
	v_fma_f64 v[112:113], v[88:89], s[6:7], v[86:87]
	v_fma_f64 v[114:115], v[102:103], s[14:15], v[100:101]
	;; [unrolled: 1-line block ×16, first 2 shown]
	v_add_f64 v[11:12], v[11:12], v[128:129]
	v_add_f64 v[96:97], v[136:137], v[140:141]
	;; [unrolled: 1-line block ×9, first 2 shown]
	v_fma_f64 v[72:73], v[98:99], s[12:13], v[112:113]
	v_fma_f64 v[74:75], v[104:105], s[16:17], v[114:115]
	;; [unrolled: 1-line block ×16, first 2 shown]
	v_add_f64 v[132:133], v[29:30], v[13:14]
	v_add_f64 v[134:135], v[80:81], v[15:16]
	;; [unrolled: 1-line block ×4, first 2 shown]
	v_fma_f64 v[120:121], v[90:91], s[0:1], v[72:73]
	v_fma_f64 v[122:123], v[92:93], s[0:1], v[74:75]
	;; [unrolled: 1-line block ×16, first 2 shown]
	v_add_nc_u32_sdwa v1, v25, v31 dst_sel:DWORD dst_unused:UNUSED_PAD src0_sel:DWORD src1_sel:BYTE_0
	v_add_nc_u32_sdwa v2, v33, v32 dst_sel:DWORD dst_unused:UNUSED_PAD src0_sel:DWORD src1_sel:BYTE_0
	v_lshl_add_u32 v30, v1, 4, v244
	v_lshl_add_u32 v29, v2, 4, v244
	ds_write_b128 v30, v[132:135]
	ds_write_b128 v30, v[120:123] offset:160
	ds_write_b128 v30, v[140:143] offset:320
	;; [unrolled: 1-line block ×4, first 2 shown]
	ds_write_b128 v29, v[136:139]
	ds_write_b128 v29, v[144:147] offset:160
	ds_write_b128 v29, v[152:155] offset:320
	;; [unrolled: 1-line block ×4, first 2 shown]
	s_waitcnt lgkmcnt(0)
	s_barrier
	buffer_gl0_inv
	s_and_saveexec_b32 s0, vcc_lo
	s_cbranch_execz .LBB0_3
; %bb.2:
	ds_read_b128 v[132:135], v255
	ds_read_b128 v[120:123], v255 offset:800
	ds_read_b128 v[140:143], v255 offset:1600
	;; [unrolled: 1-line block ×12, first 2 shown]
.LBB0_3:
	s_or_b32 exec_lo, exec_lo, s0
	v_subrev_nc_u32_e32 v0, 50, v239
	s_mov_b32 s6, 0x4267c47c
	s_mov_b32 s7, 0xbfddbe06
	;; [unrolled: 1-line block ×4, first 2 shown]
	v_cndmask_b32_e32 v0, v0, v239, vcc_lo
	s_mov_b32 s20, 0x66966769
	s_mov_b32 s21, 0xbfefc445
	;; [unrolled: 1-line block ×4, first 2 shown]
	v_mul_i32_i24_e32 v1, 0xc0, v0
	v_mul_hi_i32_i24_e32 v2, 0xc0, v0
	s_mov_b32 s16, 0x2ef20147
	s_mov_b32 s17, 0xbfedeba7
	;; [unrolled: 1-line block ×3, first 2 shown]
	v_add_co_u32 v0, s0, s2, v1
	v_add_co_ci_u32_e64 v1, s0, s3, v2, s0
	s_mov_b32 s0, 0x42a4c3d2
	s_mov_b32 s1, 0xbfea55e2
	;; [unrolled: 1-line block ×3, first 2 shown]
	s_clause 0xb
	global_load_dwordx4 v[76:79], v[0:1], off offset:640
	global_load_dwordx4 v[84:87], v[0:1], off offset:816
	global_load_dwordx4 v[108:111], v[0:1], off offset:656
	global_load_dwordx4 v[112:115], v[0:1], off offset:800
	global_load_dwordx4 v[96:99], v[0:1], off offset:672
	global_load_dwordx4 v[100:103], v[0:1], off offset:784
	global_load_dwordx4 v[72:75], v[0:1], off offset:688
	global_load_dwordx4 v[92:95], v[0:1], off offset:704
	global_load_dwordx4 v[80:83], v[0:1], off offset:720
	global_load_dwordx4 v[104:107], v[0:1], off offset:768
	global_load_dwordx4 v[88:91], v[0:1], off offset:736
	global_load_dwordx4 v[116:119], v[0:1], off offset:752
	s_mov_b32 s3, 0x3fe22d96
	s_mov_b32 s15, 0xbfd6b1d8
	;; [unrolled: 1-line block ×18, first 2 shown]
	s_waitcnt vmcnt(11) lgkmcnt(11)
	v_mul_f64 v[0:1], v[120:121], v[78:79]
	v_mul_f64 v[4:5], v[122:123], v[78:79]
	s_waitcnt vmcnt(10) lgkmcnt(0)
	v_mul_f64 v[6:7], v[170:171], v[86:87]
	s_waitcnt vmcnt(9)
	v_mul_f64 v[8:9], v[142:143], v[110:111]
	s_waitcnt vmcnt(8)
	v_mul_f64 v[12:13], v[164:165], v[114:115]
	v_mul_f64 v[2:3], v[168:169], v[86:87]
	;; [unrolled: 1-line block ×3, first 2 shown]
	s_waitcnt vmcnt(6)
	v_mul_f64 v[16:17], v[162:163], v[102:103]
	v_mul_f64 v[14:15], v[128:129], v[98:99]
	s_waitcnt vmcnt(4)
	v_mul_f64 v[20:21], v[138:139], v[94:95]
	v_mul_f64 v[18:19], v[124:125], v[74:75]
	v_fma_f64 v[231:232], v[122:123], v[76:77], v[0:1]
	v_mul_f64 v[0:1], v[166:167], v[114:115]
	v_fma_f64 v[233:234], v[120:121], v[76:77], -v[4:5]
	v_mul_f64 v[4:5], v[160:161], v[102:103]
	v_fma_f64 v[33:34], v[168:169], v[84:85], -v[6:7]
	;; [unrolled: 2-line block ×3, first 2 shown]
	v_fma_f64 v[35:36], v[166:167], v[112:113], v[12:13]
	v_fma_f64 v[31:32], v[170:171], v[84:85], v[2:3]
	v_mul_f64 v[2:3], v[130:131], v[98:99]
	v_fma_f64 v[191:192], v[142:143], v[108:109], v[10:11]
	v_mul_f64 v[8:9], v[136:137], v[94:95]
	s_waitcnt vmcnt(3)
	v_mul_f64 v[12:13], v[144:145], v[82:83]
	v_fma_f64 v[201:202], v[130:131], v[96:97], v[14:15]
	s_waitcnt vmcnt(2)
	v_mul_f64 v[14:15], v[158:159], v[106:107]
	v_fma_f64 v[199:200], v[136:137], v[92:93], -v[20:21]
	v_fma_f64 v[207:208], v[126:127], v[72:73], v[18:19]
	v_fma_f64 v[37:38], v[164:165], v[112:113], -v[0:1]
	v_mul_f64 v[0:1], v[146:147], v[82:83]
	v_fma_f64 v[166:167], v[162:163], v[100:101], v[4:5]
	s_waitcnt vmcnt(1)
	v_mul_f64 v[4:5], v[154:155], v[90:91]
	v_fma_f64 v[205:206], v[124:125], v[72:73], -v[6:7]
	s_waitcnt vmcnt(0)
	v_mul_f64 v[6:7], v[150:151], v[118:119]
	v_fma_f64 v[164:165], v[160:161], v[100:101], -v[16:17]
	v_add_f64 v[235:236], v[231:232], -v[31:32]
	v_fma_f64 v[197:198], v[128:129], v[96:97], -v[2:3]
	v_mul_f64 v[2:3], v[156:157], v[106:107]
	v_mul_f64 v[16:17], v[152:153], v[90:91]
	v_fma_f64 v[203:204], v[138:139], v[92:93], v[8:9]
	v_add_f64 v[8:9], v[233:234], v[33:34]
	v_add_f64 v[160:161], v[191:192], -v[35:36]
	v_fma_f64 v[213:214], v[146:147], v[80:81], v[12:13]
	v_fma_f64 v[193:194], v[156:157], v[104:105], -v[14:15]
	v_add_f64 v[12:13], v[231:232], v[31:32]
	v_add_f64 v[183:184], v[191:192], v[35:36]
	v_add_f64 v[136:137], v[189:190], v[37:38]
	v_fma_f64 v[209:210], v[144:145], v[80:81], -v[0:1]
	v_mul_f64 v[0:1], v[148:149], v[118:119]
	v_fma_f64 v[211:212], v[152:153], v[88:89], -v[4:5]
	v_add_f64 v[173:174], v[201:202], v[166:167]
	v_fma_f64 v[217:218], v[148:149], v[116:117], -v[6:7]
	v_mul_f64 v[10:11], v[235:236], s[6:7]
	v_add_f64 v[144:145], v[197:198], v[164:165]
	v_fma_f64 v[195:196], v[158:159], v[104:105], v[2:3]
	v_fma_f64 v[215:216], v[154:155], v[88:89], v[16:17]
	v_add_f64 v[16:17], v[233:234], -v[33:34]
	v_add_f64 v[154:155], v[201:202], -v[166:167]
	v_mul_f64 v[168:169], v[160:161], s[0:1]
	v_add_f64 v[156:157], v[197:198], -v[164:165]
	v_add_f64 v[138:139], v[205:206], v[193:194]
	v_add_f64 v[146:147], v[205:206], -v[193:194]
	v_mul_f64 v[18:19], v[235:236], s[0:1]
	v_mul_f64 v[24:25], v[160:161], s[26:27]
	v_fma_f64 v[219:220], v[150:151], v[116:117], v[0:1]
	v_add_f64 v[150:151], v[189:190], -v[37:38]
	v_add_f64 v[152:153], v[209:210], v[211:212]
	v_add_f64 v[148:149], v[199:200], v[217:218]
	v_add_f64 v[175:176], v[199:200], -v[217:218]
	v_fma_f64 v[2:3], v[8:9], s[12:13], v[10:11]
	v_add_f64 v[162:163], v[209:210], -v[211:212]
	v_add_f64 v[158:159], v[207:208], -v[195:196]
	v_add_f64 v[177:178], v[207:208], v[195:196]
	v_mul_f64 v[14:15], v[16:17], s[6:7]
	v_add_f64 v[179:180], v[213:214], -v[215:216]
	v_fma_f64 v[0:1], v[136:137], s[2:3], v[168:169]
	v_add_f64 v[185:186], v[213:214], v[215:216]
	v_mul_f64 v[20:21], v[16:17], s[0:1]
	v_mul_f64 v[140:141], v[146:147], s[38:39]
	v_add_f64 v[181:182], v[203:204], -v[219:220]
	v_mul_f64 v[4:5], v[150:151], s[0:1]
	v_add_f64 v[187:188], v[203:204], v[219:220]
	v_mul_f64 v[225:226], v[150:151], s[16:17]
	v_mul_f64 v[142:143], v[175:176], s[30:31]
	v_add_f64 v[2:3], v[132:133], v[2:3]
	v_mul_f64 v[229:230], v[162:163], s[26:27]
	v_mul_f64 v[170:171], v[175:176], s[0:1]
	buffer_store_dword v4, off, s[44:47], 0 offset:104 ; 4-byte Folded Spill
	buffer_store_dword v5, off, s[44:47], 0 offset:108 ; 4-byte Folded Spill
	v_mul_f64 v[227:228], v[179:180], s[26:27]
	v_add_f64 v[0:1], v[0:1], v[2:3]
	v_fma_f64 v[2:3], v[12:13], s[12:13], -v[14:15]
	v_add_f64 v[2:3], v[134:135], v[2:3]
	v_fma_f64 v[4:5], v[183:184], s[2:3], -v[4:5]
	v_add_f64 v[2:3], v[4:5], v[2:3]
	v_mul_f64 v[4:5], v[154:155], s[20:21]
	buffer_store_dword v4, off, s[44:47], 0 offset:96 ; 4-byte Folded Spill
	buffer_store_dword v5, off, s[44:47], 0 offset:100 ; 4-byte Folded Spill
	v_fma_f64 v[4:5], v[144:145], s[18:19], v[4:5]
	v_add_f64 v[0:1], v[4:5], v[0:1]
	v_mul_f64 v[4:5], v[156:157], s[20:21]
	buffer_store_dword v4, off, s[44:47], 0 offset:112 ; 4-byte Folded Spill
	buffer_store_dword v5, off, s[44:47], 0 offset:116 ; 4-byte Folded Spill
	v_fma_f64 v[4:5], v[173:174], s[18:19], -v[4:5]
	v_add_f64 v[2:3], v[4:5], v[2:3]
	v_mul_f64 v[4:5], v[158:159], s[16:17]
	buffer_store_dword v4, off, s[44:47], 0 offset:120 ; 4-byte Folded Spill
	buffer_store_dword v5, off, s[44:47], 0 offset:124 ; 4-byte Folded Spill
	v_fma_f64 v[4:5], v[138:139], s[14:15], v[4:5]
	v_add_f64 v[0:1], v[4:5], v[0:1]
	v_mul_f64 v[4:5], v[146:147], s[16:17]
	buffer_store_dword v4, off, s[44:47], 0 offset:136 ; 4-byte Folded Spill
	buffer_store_dword v5, off, s[44:47], 0 offset:140 ; 4-byte Folded Spill
	v_fma_f64 v[4:5], v[177:178], s[14:15], -v[4:5]
	v_add_f64 v[2:3], v[4:5], v[2:3]
	v_mul_f64 v[4:5], v[181:182], s[30:31]
	buffer_store_dword v4, off, s[44:47], 0 offset:184 ; 4-byte Folded Spill
	buffer_store_dword v5, off, s[44:47], 0 offset:188 ; 4-byte Folded Spill
	v_fma_f64 v[4:5], v[148:149], s[24:25], v[4:5]
	v_add_f64 v[0:1], v[4:5], v[0:1]
	v_fma_f64 v[4:5], v[187:188], s[24:25], -v[142:143]
	v_add_f64 v[2:3], v[4:5], v[2:3]
	v_fma_f64 v[4:5], v[152:153], s[22:23], v[227:228]
	v_add_f64 v[124:125], v[4:5], v[0:1]
	v_fma_f64 v[0:1], v[185:186], s[22:23], -v[229:230]
	v_fma_f64 v[4:5], v[183:184], s[14:15], -v[225:226]
	v_add_f64 v[126:127], v[0:1], v[2:3]
	v_mul_f64 v[2:3], v[160:161], s[16:17]
	v_fma_f64 v[0:1], v[8:9], s[2:3], v[18:19]
	buffer_store_dword v2, off, s[44:47], 0 offset:200 ; 4-byte Folded Spill
	buffer_store_dword v3, off, s[44:47], 0 offset:204 ; 4-byte Folded Spill
	v_add_f64 v[0:1], v[132:133], v[0:1]
	v_fma_f64 v[2:3], v[136:137], s[14:15], v[2:3]
	v_add_f64 v[0:1], v[2:3], v[0:1]
	v_fma_f64 v[2:3], v[12:13], s[2:3], -v[20:21]
	v_add_f64 v[2:3], v[134:135], v[2:3]
	v_add_f64 v[2:3], v[4:5], v[2:3]
	v_mul_f64 v[4:5], v[154:155], s[26:27]
	buffer_store_dword v4, off, s[44:47], 0 offset:216 ; 4-byte Folded Spill
	buffer_store_dword v5, off, s[44:47], 0 offset:220 ; 4-byte Folded Spill
	v_fma_f64 v[4:5], v[144:145], s[22:23], v[4:5]
	v_add_f64 v[6:7], v[4:5], v[0:1]
	v_mul_f64 v[4:5], v[156:157], s[26:27]
	v_fma_f64 v[0:1], v[173:174], s[22:23], -v[4:5]
	v_add_f64 v[2:3], v[0:1], v[2:3]
	v_mul_f64 v[0:1], v[158:159], s[38:39]
	v_fma_f64 v[22:23], v[138:139], s[24:25], v[0:1]
	v_add_f64 v[6:7], v[22:23], v[6:7]
	v_fma_f64 v[22:23], v[177:178], s[24:25], -v[140:141]
	v_add_f64 v[2:3], v[22:23], v[2:3]
	v_mul_f64 v[22:23], v[181:182], s[28:29]
	buffer_store_dword v22, off, s[44:47], 0 offset:192 ; 4-byte Folded Spill
	buffer_store_dword v23, off, s[44:47], 0 offset:196 ; 4-byte Folded Spill
	v_fma_f64 v[22:23], v[148:149], s[18:19], v[22:23]
	v_add_f64 v[6:7], v[22:23], v[6:7]
	v_mul_f64 v[22:23], v[175:176], s[28:29]
	buffer_store_dword v22, off, s[44:47], 0 offset:224 ; 4-byte Folded Spill
	buffer_store_dword v23, off, s[44:47], 0 offset:228 ; 4-byte Folded Spill
	v_fma_f64 v[22:23], v[187:188], s[18:19], -v[22:23]
	v_add_f64 v[22:23], v[22:23], v[2:3]
	v_mul_f64 v[2:3], v[179:180], s[36:37]
	buffer_store_dword v2, off, s[44:47], 0 offset:208 ; 4-byte Folded Spill
	buffer_store_dword v3, off, s[44:47], 0 offset:212 ; 4-byte Folded Spill
	;; [unrolled: 1-line block ×4, first 2 shown]
	v_fma_f64 v[2:3], v[152:153], s[12:13], v[2:3]
	v_fma_f64 v[24:25], v[136:137], s[22:23], v[24:25]
	v_add_f64 v[128:129], v[2:3], v[6:7]
	v_mul_f64 v[2:3], v[162:163], s[36:37]
	v_fma_f64 v[6:7], v[185:186], s[12:13], -v[2:3]
	v_add_f64 v[130:131], v[6:7], v[22:23]
	v_mul_f64 v[22:23], v[235:236], s[20:21]
	v_fma_f64 v[6:7], v[8:9], s[18:19], v[22:23]
	v_add_f64 v[6:7], v[132:133], v[6:7]
	v_add_f64 v[120:121], v[24:25], v[6:7]
	v_mul_f64 v[24:25], v[16:17], s[20:21]
	v_fma_f64 v[6:7], v[12:13], s[18:19], -v[24:25]
	v_add_f64 v[122:123], v[134:135], v[6:7]
	v_mul_f64 v[6:7], v[150:151], s[26:27]
	buffer_store_dword v6, off, s[44:47], 0 offset:232 ; 4-byte Folded Spill
	buffer_store_dword v7, off, s[44:47], 0 offset:236 ; 4-byte Folded Spill
	v_fma_f64 v[237:238], v[183:184], s[22:23], -v[6:7]
	v_mul_f64 v[6:7], v[154:155], s[34:35]
	buffer_store_dword v6, off, s[44:47], 0 offset:152 ; 4-byte Folded Spill
	buffer_store_dword v7, off, s[44:47], 0 offset:156 ; 4-byte Folded Spill
	v_add_f64 v[122:123], v[237:238], v[122:123]
	v_fma_f64 v[237:238], v[144:145], s[14:15], v[6:7]
	v_mul_f64 v[6:7], v[156:157], s[34:35]
	buffer_store_dword v6, off, s[44:47], 0 offset:176 ; 4-byte Folded Spill
	buffer_store_dword v7, off, s[44:47], 0 offset:180 ; 4-byte Folded Spill
	v_add_f64 v[120:121], v[237:238], v[120:121]
	v_fma_f64 v[237:238], v[173:174], s[14:15], -v[6:7]
	v_mul_f64 v[6:7], v[158:159], s[36:37]
	buffer_store_dword v6, off, s[44:47], 0 offset:128 ; 4-byte Folded Spill
	buffer_store_dword v7, off, s[44:47], 0 offset:132 ; 4-byte Folded Spill
	v_add_f64 v[122:123], v[237:238], v[122:123]
	v_fma_f64 v[245:246], v[138:139], s[12:13], v[6:7]
	v_mul_f64 v[6:7], v[146:147], s[36:37]
	buffer_store_dword v6, off, s[44:47], 0 offset:168 ; 4-byte Folded Spill
	buffer_store_dword v7, off, s[44:47], 0 offset:172 ; 4-byte Folded Spill
	;; [unrolled: 1-line block ×4, first 2 shown]
	v_add_f64 v[120:121], v[245:246], v[120:121]
	v_fma_f64 v[245:246], v[177:178], s[12:13], -v[6:7]
	v_mul_f64 v[6:7], v[181:182], s[0:1]
	v_fma_f64 v[237:238], v[187:188], s[2:3], -v[170:171]
	v_mul_f64 v[170:171], v[179:180], s[30:31]
	v_add_f64 v[122:123], v[245:246], v[122:123]
	v_fma_f64 v[245:246], v[148:149], s[2:3], v[6:7]
	v_add_f64 v[122:123], v[237:238], v[122:123]
	v_add_f64 v[120:121], v[245:246], v[120:121]
	v_fma_f64 v[237:238], v[152:153], s[24:25], v[170:171]
	v_mul_f64 v[245:246], v[162:163], s[30:31]
	v_add_f64 v[120:121], v[237:238], v[120:121]
	v_fma_f64 v[237:238], v[185:186], s[24:25], -v[245:246]
	v_add_f64 v[122:123], v[237:238], v[122:123]
	s_and_saveexec_b32 s33, vcc_lo
	s_cbranch_execz .LBB0_5
; %bb.4:
	v_mul_f64 v[237:238], v[12:13], s[22:23]
	s_mov_b32 s41, 0x3fcea1e5
	s_mov_b32 s40, s26
	buffer_store_dword v0, off, s[44:47], 0 offset:336 ; 4-byte Folded Spill
	buffer_store_dword v1, off, s[44:47], 0 offset:340 ; 4-byte Folded Spill
	v_mov_b32_e32 v39, v239
	v_add_f64 v[233:234], v[132:133], v[233:234]
	s_mov_b32 s43, 0x3fea55e2
	s_mov_b32 s42, s0
	v_fma_f64 v[0:1], v[16:17], s[40:41], v[237:238]
	buffer_store_dword v0, off, s[44:47], 0 offset:288 ; 4-byte Folded Spill
	buffer_store_dword v1, off, s[44:47], 0 offset:292 ; 4-byte Folded Spill
	v_fma_f64 v[0:1], v[16:17], s[26:27], v[237:238]
	v_mov_b32_e32 v238, v7
	v_mov_b32_e32 v237, v6
	v_add_f64 v[6:7], v[134:135], v[231:232]
	buffer_store_dword v0, off, s[44:47], 0 offset:296 ; 4-byte Folded Spill
	buffer_store_dword v1, off, s[44:47], 0 offset:300 ; 4-byte Folded Spill
	;; [unrolled: 1-line block ×6, first 2 shown]
	v_mov_b32_e32 v221, v251
	v_mov_b32_e32 v222, v252
	;; [unrolled: 1-line block ×12, first 2 shown]
	v_mul_f64 v[239:240], v[12:13], s[24:25]
	v_mul_f64 v[241:242], v[12:13], s[14:15]
	v_add_f64 v[6:7], v[6:7], v[191:192]
	v_fma_f64 v[0:1], v[16:17], s[38:39], v[239:240]
	v_fma_f64 v[239:240], v[16:17], s[30:31], v[239:240]
	v_add_f64 v[6:7], v[6:7], v[201:202]
	buffer_store_dword v0, off, s[44:47], 0 offset:304 ; 4-byte Folded Spill
	buffer_store_dword v1, off, s[44:47], 0 offset:308 ; 4-byte Folded Spill
	;; [unrolled: 1-line block ×10, first 2 shown]
	s_clause 0x1
	buffer_load_dword v0, off, s[44:47], 0 offset:288
	buffer_load_dword v1, off, s[44:47], 0 offset:292
	v_mul_f64 v[33:34], v[12:13], s[18:19]
	buffer_store_dword v170, off, s[44:47], 0 offset:288 ; 4-byte Folded Spill
	buffer_store_dword v171, off, s[44:47], 0 offset:292 ; 4-byte Folded Spill
	v_fma_f64 v[31:32], v[16:17], s[34:35], v[241:242]
	v_fma_f64 v[16:17], v[16:17], s[16:17], v[241:242]
	v_mov_b32_e32 v170, v244
	v_add_f64 v[6:7], v[6:7], v[207:208]
	v_add_f64 v[24:25], v[24:25], v[33:34]
	v_mul_f64 v[33:34], v[8:9], s[18:19]
	v_add_f64 v[31:32], v[134:135], v[31:32]
	v_add_f64 v[16:17], v[134:135], v[16:17]
	v_add_f64 v[6:7], v[6:7], v[203:204]
	v_add_f64 v[24:25], v[134:135], v[24:25]
	v_add_f64 v[22:23], v[33:34], -v[22:23]
	v_mul_f64 v[33:34], v[12:13], s[2:3]
	v_mul_f64 v[12:13], v[12:13], s[12:13]
	v_add_f64 v[6:7], v[6:7], v[213:214]
	v_add_f64 v[22:23], v[132:133], v[22:23]
	;; [unrolled: 1-line block ×3, first 2 shown]
	v_mul_f64 v[33:34], v[8:9], s[2:3]
	v_add_f64 v[12:13], v[14:15], v[12:13]
	v_mul_f64 v[14:15], v[8:9], s[12:13]
	v_add_f64 v[6:7], v[6:7], v[215:216]
	v_add_f64 v[20:21], v[134:135], v[20:21]
	v_add_f64 v[18:19], v[33:34], -v[18:19]
	v_mul_f64 v[33:34], v[235:236], s[30:31]
	v_add_f64 v[10:11], v[14:15], -v[10:11]
	v_mul_f64 v[14:15], v[235:236], s[26:27]
	v_mul_f64 v[235:236], v[235:236], s[16:17]
	v_add_f64 v[12:13], v[134:135], v[12:13]
	v_add_f64 v[6:7], v[6:7], v[219:220]
	;; [unrolled: 1-line block ×3, first 2 shown]
	v_fma_f64 v[35:36], v[8:9], s[24:25], v[33:34]
	v_fma_f64 v[33:34], v[8:9], s[24:25], -v[33:34]
	v_fma_f64 v[241:242], v[8:9], s[22:23], v[14:15]
	v_fma_f64 v[14:15], v[8:9], s[22:23], -v[14:15]
	v_fma_f64 v[37:38], v[8:9], s[14:15], -v[235:236]
	v_fma_f64 v[8:9], v[8:9], s[14:15], v[235:236]
	v_add_f64 v[10:11], v[132:133], v[10:11]
	v_add_f64 v[6:7], v[6:7], v[195:196]
	;; [unrolled: 1-line block ×8, first 2 shown]
	v_mul_f64 v[132:133], v[183:184], s[2:3]
	s_waitcnt vmcnt(0)
	v_add_f64 v[235:236], v[134:135], v[0:1]
	s_clause 0x1
	buffer_load_dword v0, off, s[44:47], 0 offset:296
	buffer_load_dword v1, off, s[44:47], 0 offset:300
	s_waitcnt vmcnt(0)
	v_add_f64 v[243:244], v[134:135], v[0:1]
	s_clause 0x1
	buffer_load_dword v0, off, s[44:47], 0 offset:304
	buffer_load_dword v1, off, s[44:47], 0 offset:308
	s_waitcnt vmcnt(0)
	v_add_f64 v[231:232], v[134:135], v[0:1]
	buffer_store_dword v231, off, s[44:47], 0 offset:328 ; 4-byte Folded Spill
	buffer_store_dword v232, off, s[44:47], 0 offset:332 ; 4-byte Folded Spill
	v_add_f64 v[231:232], v[134:135], v[239:240]
	v_mul_f64 v[134:135], v[136:137], s[2:3]
	v_mul_f64 v[239:240], v[187:188], s[24:25]
	buffer_store_dword v231, off, s[44:47], 0 offset:320 ; 4-byte Folded Spill
	buffer_store_dword v232, off, s[44:47], 0 offset:324 ; 4-byte Folded Spill
	;; [unrolled: 1-line block ×8, first 2 shown]
	s_clause 0x3
	buffer_load_dword v8, off, s[44:47], 0 offset:104
	buffer_load_dword v9, off, s[44:47], 0 offset:108
	buffer_load_dword v31, off, s[44:47], 0 offset:112
	buffer_load_dword v32, off, s[44:47], 0 offset:116
	v_mov_b32_e32 v231, v245
	v_mov_b32_e32 v232, v246
	v_mul_f64 v[245:246], v[183:184], s[12:13]
	v_add_f64 v[134:135], v[134:135], -v[168:169]
	v_add_f64 v[142:143], v[142:143], v[239:240]
	v_fma_f64 v[33:34], v[150:151], s[6:7], v[245:246]
	v_add_f64 v[10:11], v[134:135], v[10:11]
	v_add_f64 v[33:34], v[33:34], v[235:236]
	v_mul_f64 v[235:236], v[160:161], s[36:37]
	s_waitcnt vmcnt(2)
	v_add_f64 v[132:133], v[8:9], v[132:133]
	v_fma_f64 v[8:9], v[136:137], s[12:13], v[235:236]
	v_fma_f64 v[235:236], v[136:137], s[12:13], -v[235:236]
	v_add_f64 v[12:13], v[132:133], v[12:13]
	v_add_f64 v[8:9], v[8:9], v[241:242]
	;; [unrolled: 1-line block ×3, first 2 shown]
	v_mul_f64 v[235:236], v[173:174], s[18:19]
	v_fma_f64 v[241:242], v[150:151], s[36:37], v[245:246]
	v_mul_f64 v[245:246], v[177:178], s[14:15]
	v_mul_f64 v[132:133], v[173:174], s[24:25]
	s_waitcnt vmcnt(0)
	v_add_f64 v[235:236], v[31:32], v[235:236]
	s_clause 0x1
	buffer_load_dword v31, off, s[44:47], 0 offset:96
	buffer_load_dword v32, off, s[44:47], 0 offset:100
	v_add_f64 v[241:242], v[241:242], v[243:244]
	v_mul_f64 v[243:244], v[144:145], s[18:19]
	v_fma_f64 v[134:135], v[156:157], s[38:39], v[132:133]
	v_fma_f64 v[132:133], v[156:157], s[30:31], v[132:133]
	v_add_f64 v[12:13], v[235:236], v[12:13]
	v_mul_f64 v[235:236], v[185:186], s[22:23]
	v_add_f64 v[33:34], v[134:135], v[33:34]
	v_mul_f64 v[134:135], v[154:155], s[30:31]
	v_add_f64 v[132:133], v[132:133], v[241:242]
	v_add_f64 v[229:230], v[229:230], v[235:236]
	v_mul_f64 v[235:236], v[152:153], s[22:23]
	v_fma_f64 v[239:240], v[144:145], s[24:25], v[134:135]
	v_fma_f64 v[134:135], v[144:145], s[24:25], -v[134:135]
	v_add_f64 v[227:228], v[235:236], -v[227:228]
	v_mul_f64 v[235:236], v[177:178], s[2:3]
	v_add_f64 v[8:9], v[239:240], v[8:9]
	v_add_f64 v[14:15], v[134:135], v[14:15]
	v_mul_f64 v[134:135], v[148:149], s[24:25]
	v_fma_f64 v[239:240], v[146:147], s[0:1], v[235:236]
	v_fma_f64 v[235:236], v[146:147], s[42:43], v[235:236]
	v_add_f64 v[33:34], v[239:240], v[33:34]
	v_mul_f64 v[239:240], v[158:159], s[42:43]
	v_add_f64 v[132:133], v[235:236], v[132:133]
	v_fma_f64 v[241:242], v[138:139], s[2:3], v[239:240]
	v_fma_f64 v[235:236], v[138:139], s[2:3], -v[239:240]
	v_mov_b32_e32 v239, v39
	v_add_f64 v[8:9], v[241:242], v[8:9]
	v_add_f64 v[14:15], v[235:236], v[14:15]
	s_waitcnt vmcnt(0)
	v_add_f64 v[243:244], v[243:244], -v[31:32]
	s_clause 0x3
	buffer_load_dword v31, off, s[44:47], 0 offset:136
	buffer_load_dword v32, off, s[44:47], 0 offset:140
	;; [unrolled: 1-line block ×4, first 2 shown]
	v_add_f64 v[10:11], v[243:244], v[10:11]
	v_mov_b32_e32 v240, v247
	v_mov_b32_e32 v241, v248
	;; [unrolled: 1-line block ×13, first 2 shown]
	s_waitcnt vmcnt(2)
	v_add_f64 v[245:246], v[31:32], v[245:246]
	v_mul_f64 v[31:32], v[138:139], s[14:15]
	v_add_f64 v[12:13], v[245:246], v[12:13]
	s_waitcnt vmcnt(0)
	v_add_f64 v[31:32], v[31:32], -v[168:169]
	s_clause 0x1
	buffer_load_dword v168, off, s[44:47], 0 offset:184
	buffer_load_dword v169, off, s[44:47], 0 offset:188
	v_add_f64 v[12:13], v[142:143], v[12:13]
	v_add_f64 v[10:11], v[31:32], v[10:11]
	v_mul_f64 v[31:32], v[183:184], s[14:15]
	v_add_f64 v[31:32], v[225:226], v[31:32]
	v_mul_f64 v[225:226], v[136:137], s[14:15]
	;; [unrolled: 2-line block ×3, first 2 shown]
	s_waitcnt vmcnt(0)
	v_add_f64 v[134:135], v[134:135], -v[168:169]
	s_clause 0x1
	buffer_load_dword v168, off, s[44:47], 0 offset:200
	buffer_load_dword v169, off, s[44:47], 0 offset:204
	v_add_f64 v[134:135], v[134:135], v[10:11]
	s_waitcnt vmcnt(0)
	v_add_f64 v[221:222], v[225:226], -v[168:169]
	s_clause 0x1
	buffer_load_dword v168, off, s[44:47], 0 offset:216
	buffer_load_dword v169, off, s[44:47], 0 offset:220
	v_mul_f64 v[225:226], v[173:174], s[22:23]
	s_clause 0x1
	buffer_load_dword v0, off, s[44:47], 0 offset:336
	buffer_load_dword v1, off, s[44:47], 0 offset:340
	v_add_f64 v[18:19], v[221:222], v[18:19]
	v_fma_f64 v[221:222], v[175:176], s[34:35], v[31:32]
	v_add_f64 v[4:5], v[4:5], v[225:226]
	v_mul_f64 v[225:226], v[144:145], s[22:23]
	v_fma_f64 v[31:32], v[175:176], s[16:17], v[31:32]
	v_add_f64 v[33:34], v[221:222], v[33:34]
	v_add_f64 v[4:5], v[4:5], v[20:21]
	v_mul_f64 v[20:21], v[148:149], s[18:19]
	v_add_f64 v[31:32], v[31:32], v[132:133]
	v_mul_f64 v[132:133], v[187:188], s[18:19]
	v_mul_f64 v[221:222], v[181:182], s[16:17]
	s_waitcnt vmcnt(2)
	v_add_f64 v[170:171], v[225:226], -v[168:169]
	s_clause 0x1
	buffer_load_dword v168, off, s[44:47], 0 offset:224
	buffer_load_dword v169, off, s[44:47], 0 offset:228
	v_mul_f64 v[225:226], v[177:178], s[24:25]
	v_add_f64 v[18:19], v[170:171], v[18:19]
	v_mul_f64 v[170:171], v[136:137], s[22:23]
	v_add_f64 v[140:141], v[140:141], v[225:226]
	;; [unrolled: 2-line block ×3, first 2 shown]
	s_waitcnt vmcnt(2)
	v_add_f64 v[0:1], v[225:226], -v[0:1]
	v_fma_f64 v[225:226], v[148:149], s[14:15], v[221:222]
	v_add_f64 v[0:1], v[0:1], v[18:19]
	v_mul_f64 v[18:19], v[185:186], s[12:13]
	v_add_f64 v[8:9], v[225:226], v[8:9]
	v_add_f64 v[18:19], v[2:3], v[18:19]
	v_mul_f64 v[2:3], v[152:153], s[12:13]
	s_waitcnt vmcnt(0)
	v_add_f64 v[132:133], v[168:169], v[132:133]
	s_clause 0x3
	buffer_load_dword v168, off, s[44:47], 0 offset:192
	buffer_load_dword v169, off, s[44:47], 0 offset:196
	buffer_load_dword v140, off, s[44:47], 0 offset:208
	buffer_load_dword v141, off, s[44:47], 0 offset:212
	v_add_f64 v[132:133], v[132:133], v[4:5]
	s_waitcnt vmcnt(2)
	v_add_f64 v[20:21], v[20:21], -v[168:169]
	s_clause 0x1
	buffer_load_dword v168, off, s[44:47], 0 offset:232
	buffer_load_dword v169, off, s[44:47], 0 offset:236
	s_waitcnt vmcnt(2)
	v_add_f64 v[140:141], v[2:3], -v[140:141]
	v_mul_f64 v[2:3], v[183:184], s[22:23]
	v_add_f64 v[20:21], v[20:21], v[0:1]
	v_add_f64 v[0:1], v[6:7], v[166:167]
	v_mul_f64 v[6:7], v[154:155], s[36:37]
	v_mul_f64 v[154:155], v[154:155], s[0:1]
	;; [unrolled: 1-line block ×3, first 2 shown]
	v_fma_f64 v[10:11], v[144:145], s[12:13], -v[6:7]
	v_fma_f64 v[6:7], v[144:145], s[12:13], v[6:7]
	s_waitcnt vmcnt(0)
	v_add_f64 v[2:3], v[168:169], v[2:3]
	v_add_f64 v[168:169], v[233:234], v[189:190]
	s_clause 0x3
	buffer_load_dword v189, off, s[44:47], 0 offset:144
	buffer_load_dword v190, off, s[44:47], 0 offset:148
	;; [unrolled: 1-line block ×4, first 2 shown]
	v_add_f64 v[2:3], v[2:3], v[24:25]
	v_add_f64 v[168:169], v[168:169], v[197:198]
	;; [unrolled: 1-line block ×3, first 2 shown]
	v_mul_f64 v[168:169], v[144:145], s[14:15]
	v_add_f64 v[24:25], v[24:25], v[199:200]
	v_add_f64 v[24:25], v[24:25], v[209:210]
	v_add_f64 v[24:25], v[24:25], v[211:212]
	v_add_f64 v[24:25], v[24:25], v[217:218]
	v_add_f64 v[24:25], v[24:25], v[193:194]
	v_add_f64 v[4:5], v[24:25], v[164:165]
	v_mul_f64 v[24:25], v[183:184], s[18:19]
	s_waitcnt vmcnt(2)
	v_add_f64 v[170:171], v[170:171], -v[189:190]
	v_mul_f64 v[189:190], v[173:174], s[14:15]
	v_add_f64 v[22:23], v[170:171], v[22:23]
	s_waitcnt vmcnt(0)
	v_add_f64 v[189:190], v[191:192], v[189:190]
	s_clause 0x1
	buffer_load_dword v191, off, s[44:47], 0 offset:152
	buffer_load_dword v192, off, s[44:47], 0 offset:156
	v_mul_f64 v[170:171], v[177:178], s[12:13]
	v_mul_f64 v[177:178], v[177:178], s[22:23]
	v_add_f64 v[2:3], v[189:190], v[2:3]
	v_mul_f64 v[189:190], v[138:139], s[12:13]
	s_waitcnt vmcnt(0)
	v_add_f64 v[168:169], v[168:169], -v[191:192]
	s_clause 0x1
	buffer_load_dword v191, off, s[44:47], 0 offset:168
	buffer_load_dword v192, off, s[44:47], 0 offset:172
	v_add_f64 v[22:23], v[168:169], v[22:23]
	v_mul_f64 v[168:169], v[187:188], s[2:3]
	s_waitcnt vmcnt(0)
	v_add_f64 v[170:171], v[191:192], v[170:171]
	s_clause 0x1
	buffer_load_dword v191, off, s[44:47], 0 offset:128
	buffer_load_dword v192, off, s[44:47], 0 offset:132
	v_add_f64 v[2:3], v[170:171], v[2:3]
	v_mul_f64 v[170:171], v[148:149], s[2:3]
	v_add_f64 v[170:171], v[170:171], -v[237:238]
	s_waitcnt vmcnt(0)
	v_add_f64 v[189:190], v[189:190], -v[191:192]
	s_clause 0x1
	buffer_load_dword v191, off, s[44:47], 0 offset:160
	buffer_load_dword v192, off, s[44:47], 0 offset:164
	v_add_f64 v[22:23], v[189:190], v[22:23]
	v_mul_f64 v[189:190], v[183:184], s[24:25]
	v_add_f64 v[170:171], v[170:171], v[22:23]
	s_waitcnt vmcnt(0)
	v_add_f64 v[168:169], v[191:192], v[168:169]
	v_fma_f64 v[191:192], v[150:151], s[38:39], v[189:190]
	v_add_f64 v[16:17], v[191:192], v[16:17]
	v_mul_f64 v[191:192], v[160:161], s[38:39]
	v_fma_f64 v[193:194], v[136:137], s[24:25], -v[191:192]
	v_add_f64 v[37:38], v[193:194], v[37:38]
	v_mul_f64 v[193:194], v[173:174], s[12:13]
	v_add_f64 v[10:11], v[10:11], v[37:38]
	v_fma_f64 v[195:196], v[156:157], s[36:37], v[193:194]
	v_fma_f64 v[37:38], v[150:151], s[20:21], v[24:25]
	;; [unrolled: 1-line block ×4, first 2 shown]
	v_add_f64 v[16:17], v[195:196], v[16:17]
	v_fma_f64 v[195:196], v[148:149], s[14:15], -v[221:222]
	s_clause 0x5
	buffer_load_dword v221, off, s[44:47], 0 offset:240
	buffer_load_dword v222, off, s[44:47], 0 offset:244
	;; [unrolled: 1-line block ×6, first 2 shown]
	v_add_f64 v[14:15], v[195:196], v[14:15]
	s_waitcnt vmcnt(0)
	v_add_f64 v[37:38], v[37:38], v[142:143]
	v_mul_f64 v[142:143], v[160:161], s[28:29]
	v_fma_f64 v[160:161], v[136:137], s[18:19], v[142:143]
	v_fma_f64 v[142:143], v[136:137], s[18:19], -v[142:143]
	v_fma_f64 v[136:137], v[136:137], s[24:25], v[191:192]
	v_add_f64 v[35:36], v[160:161], v[35:36]
	s_clause 0x7
	buffer_load_dword v160, off, s[44:47], 0 offset:320
	buffer_load_dword v161, off, s[44:47], 0 offset:324
	;; [unrolled: 1-line block ×8, first 2 shown]
	s_waitcnt vmcnt(6)
	v_add_f64 v[24:25], v[24:25], v[160:161]
	v_mul_f64 v[160:161], v[173:174], s[2:3]
	s_waitcnt vmcnt(4)
	v_add_f64 v[142:143], v[142:143], v[164:165]
	v_fma_f64 v[173:174], v[144:145], s[2:3], v[154:155]
	s_waitcnt vmcnt(2)
	v_add_f64 v[150:151], v[150:151], v[183:184]
	v_mul_f64 v[183:184], v[158:159], s[20:21]
	v_fma_f64 v[154:155], v[144:145], s[2:3], -v[154:155]
	v_mul_f64 v[158:159], v[158:159], s[40:41]
	s_waitcnt vmcnt(0)
	v_add_f64 v[136:137], v[136:137], v[189:190]
	v_mul_f64 v[144:145], v[187:188], s[22:23]
	v_mul_f64 v[189:190], v[181:182], s[40:41]
	;; [unrolled: 1-line block ×4, first 2 shown]
	v_fma_f64 v[164:165], v[156:157], s[42:43], v[160:161]
	v_fma_f64 v[160:161], v[156:157], s[0:1], v[160:161]
	v_add_f64 v[35:36], v[173:174], v[35:36]
	v_fma_f64 v[156:157], v[156:157], s[6:7], v[193:194]
	v_fma_f64 v[173:174], v[138:139], s[18:19], -v[183:184]
	v_add_f64 v[142:143], v[154:155], v[142:143]
	v_fma_f64 v[154:155], v[138:139], s[22:23], v[158:159]
	v_fma_f64 v[158:159], v[138:139], s[22:23], -v[158:159]
	v_fma_f64 v[138:139], v[138:139], s[18:19], v[183:184]
	v_add_f64 v[6:7], v[6:7], v[136:137]
	v_fma_f64 v[136:137], v[175:176], s[40:41], v[144:145]
	v_fma_f64 v[183:184], v[148:149], s[22:23], -v[189:190]
	v_fma_f64 v[144:145], v[175:176], s[26:27], v[144:145]
	v_add_f64 v[37:38], v[164:165], v[37:38]
	v_fma_f64 v[164:165], v[146:147], s[20:21], v[166:167]
	v_add_f64 v[24:25], v[160:161], v[24:25]
	;; [unrolled: 2-line block ×3, first 2 shown]
	v_mul_f64 v[173:174], v[152:153], s[24:25]
	v_fma_f64 v[177:178], v[146:147], s[40:41], v[177:178]
	v_fma_f64 v[146:147], v[146:147], s[28:29], v[166:167]
	v_add_f64 v[150:151], v[156:157], v[150:151]
	v_add_f64 v[6:7], v[138:139], v[6:7]
	v_mul_f64 v[156:157], v[179:180], s[28:29]
	v_add_f64 v[35:36], v[154:155], v[35:36]
	v_mul_f64 v[154:155], v[179:180], s[42:43]
	v_mul_f64 v[166:167], v[185:186], s[18:19]
	v_add_f64 v[142:143], v[158:159], v[142:143]
	v_fma_f64 v[158:159], v[148:149], s[12:13], v[181:182]
	v_fma_f64 v[181:182], v[148:149], s[12:13], -v[181:182]
	v_mul_f64 v[179:180], v[179:180], s[16:17]
	v_fma_f64 v[148:149], v[148:149], s[22:23], v[189:190]
	v_add_f64 v[16:17], v[164:165], v[16:17]
	v_mul_f64 v[164:165], v[185:186], s[24:25]
	v_add_f64 v[37:38], v[160:161], v[37:38]
	v_mul_f64 v[160:161], v[185:186], s[2:3]
	v_mul_f64 v[185:186], v[185:186], s[14:15]
	v_add_f64 v[24:25], v[177:178], v[24:25]
	v_fma_f64 v[177:178], v[175:176], s[6:7], v[187:188]
	v_fma_f64 v[187:188], v[175:176], s[36:37], v[187:188]
	v_add_f64 v[146:147], v[146:147], v[150:151]
	v_fma_f64 v[150:151], v[152:153], s[18:19], v[156:157]
	v_fma_f64 v[156:157], v[152:153], s[18:19], -v[156:157]
	v_add_f64 v[183:184], v[183:184], v[10:11]
	v_fma_f64 v[191:192], v[152:153], s[2:3], -v[154:155]
	v_fma_f64 v[175:176], v[162:163], s[20:21], v[166:167]
	v_fma_f64 v[166:167], v[162:163], s[28:29], v[166:167]
	v_add_f64 v[35:36], v[158:159], v[35:36]
	v_add_f64 v[142:143], v[181:182], v[142:143]
	;; [unrolled: 1-line block ×8, first 2 shown]
	s_clause 0x1
	buffer_load_dword v2, off, s[44:47], 0 offset:288
	buffer_load_dword v3, off, s[44:47], 0 offset:292
	v_fma_f64 v[189:190], v[162:163], s[42:43], v[160:161]
	v_fma_f64 v[158:159], v[162:163], s[34:35], v[185:186]
	v_add_f64 v[37:38], v[177:178], v[37:38]
	v_add_f64 v[24:25], v[187:188], v[24:25]
	v_fma_f64 v[177:178], v[162:163], s[16:17], v[185:186]
	v_fma_f64 v[160:161], v[162:163], s[0:1], v[160:161]
	v_fma_f64 v[162:163], v[152:153], s[14:15], -v[179:180]
	v_add_f64 v[144:145], v[144:145], v[146:147]
	v_fma_f64 v[146:147], v[152:153], s[14:15], v[179:180]
	v_fma_f64 v[152:153], v[152:153], s[2:3], v[154:155]
	v_add_f64 v[6:7], v[166:167], v[31:32]
	v_add_f64 v[140:141], v[146:147], v[35:36]
	;; [unrolled: 1-line block ×4, first 2 shown]
	s_waitcnt vmcnt(0)
	v_add_f64 v[168:169], v[173:174], -v[2:3]
	s_clause 0x1
	buffer_load_dword v2, off, s[44:47], 0 offset:272
	buffer_load_dword v3, off, s[44:47], 0 offset:276
	s_waitcnt vmcnt(0)
	v_add_f64 v[22:23], v[0:1], v[2:3]
	s_clause 0x3
	buffer_load_dword v0, off, s[44:47], 0 offset:280
	buffer_load_dword v1, off, s[44:47], 0 offset:284
	;; [unrolled: 1-line block ×4, first 2 shown]
	v_add_f64 v[2:3], v[175:176], v[33:34]
	s_waitcnt vmcnt(2)
	v_add_f64 v[173:174], v[4:5], v[0:1]
	s_waitcnt vmcnt(0)
	v_add_f64 v[22:23], v[22:23], v[16:17]
	s_clause 0x1
	buffer_load_dword v16, off, s[44:47], 0 offset:264
	buffer_load_dword v17, off, s[44:47], 0 offset:268
	v_add_f64 v[0:1], v[150:151], v[8:9]
	v_add_f64 v[8:9], v[227:228], v[134:135]
	;; [unrolled: 1-line block ×10, first 2 shown]
	v_lshl_add_u32 v24, v239, 4, v244
	s_waitcnt vmcnt(0)
	v_add_f64 v[20:21], v[173:174], v[16:17]
	v_add_f64 v[16:17], v[168:169], v[170:171]
	ds_write_b128 v255, v[20:23]
	ds_write_b128 v24, v[8:11] offset:800
	ds_write_b128 v24, v[12:15] offset:1600
	;; [unrolled: 1-line block ×12, first 2 shown]
.LBB0_5:
	s_or_b32 exec_lo, exec_lo, s33
	v_add_co_u32 v4, s0, 0x28a0, v26
	v_add_co_ci_u32_e64 v5, s0, 0, v27, s0
	v_add_co_u32 v0, s0, 0x2800, v26
	v_add_co_ci_u32_e64 v1, s0, 0, v27, s0
	;; [unrolled: 2-line block ×5, first 2 shown]
	v_add_co_u32 v33, s0, 0x4800, v26
	s_waitcnt lgkmcnt(0)
	s_waitcnt_vscnt null, 0x0
	s_barrier
	buffer_gl0_inv
	s_clause 0x5
	global_load_dwordx4 v[0:3], v[0:1], off offset:160
	global_load_dwordx4 v[4:7], v[4:5], off offset:1040
	;; [unrolled: 1-line block ×6, first 2 shown]
	v_add_co_ci_u32_e64 v34, s0, 0, v27, s0
	s_clause 0x3
	global_load_dwordx4 v[24:27], v[31:32], off offset:256
	global_load_dwordx4 v[132:135], v[31:32], off offset:1296
	;; [unrolled: 1-line block ×4, first 2 shown]
	ds_read_b128 v[144:147], v255
	ds_read_b128 v[148:151], v255 offset:1040
	ds_read_b128 v[152:155], v255 offset:2080
	;; [unrolled: 1-line block ×9, first 2 shown]
	s_mov_b32 s6, 0x134454ff
	s_mov_b32 s7, 0xbfee6f0e
	;; [unrolled: 1-line block ×16, first 2 shown]
	s_waitcnt vmcnt(9) lgkmcnt(9)
	v_mul_f64 v[31:32], v[146:147], v[2:3]
	v_mul_f64 v[2:3], v[144:145], v[2:3]
	s_waitcnt vmcnt(8) lgkmcnt(8)
	v_mul_f64 v[33:34], v[150:151], v[6:7]
	v_mul_f64 v[6:7], v[148:149], v[6:7]
	;; [unrolled: 3-line block ×10, first 2 shown]
	v_fma_f64 v[142:143], v[144:145], v[0:1], -v[31:32]
	v_fma_f64 v[144:145], v[146:147], v[0:1], v[2:3]
	v_fma_f64 v[0:1], v[148:149], v[4:5], -v[33:34]
	v_fma_f64 v[2:3], v[150:151], v[4:5], v[6:7]
	;; [unrolled: 2-line block ×10, first 2 shown]
	ds_write_b128 v255, v[142:145]
	ds_write_b128 v255, v[0:3] offset:1040
	ds_write_b128 v255, v[4:7] offset:2080
	ds_write_b128 v255, v[8:11] offset:3120
	ds_write_b128 v255, v[12:15] offset:4160
	ds_write_b128 v255, v[16:19] offset:5200
	ds_write_b128 v255, v[20:23] offset:6240
	ds_write_b128 v255, v[24:27] offset:7280
	ds_write_b128 v255, v[132:135] offset:8320
	ds_write_b128 v255, v[136:139] offset:9360
	s_waitcnt lgkmcnt(0)
	s_barrier
	buffer_gl0_inv
	ds_read_b128 v[0:3], v255 offset:3120
	ds_read_b128 v[4:7], v255 offset:5200
	;; [unrolled: 1-line block ×8, first 2 shown]
	ds_read_b128 v[136:139], v255
	ds_read_b128 v[140:143], v255 offset:1040
	s_waitcnt lgkmcnt(0)
	s_barrier
	buffer_gl0_inv
	v_add_f64 v[179:180], v[0:1], -v[4:5]
	v_add_f64 v[31:32], v[6:7], v[10:11]
	v_add_f64 v[33:34], v[2:3], v[14:15]
	;; [unrolled: 1-line block ×4, first 2 shown]
	v_add_f64 v[156:157], v[0:1], -v[12:13]
	v_add_f64 v[158:159], v[4:5], -v[8:9]
	v_add_f64 v[162:163], v[2:3], -v[14:15]
	v_add_f64 v[37:38], v[136:137], v[16:17]
	v_add_f64 v[144:145], v[20:21], v[24:25]
	;; [unrolled: 1-line block ×5, first 2 shown]
	v_add_f64 v[181:182], v[12:13], -v[8:9]
	v_add_f64 v[183:184], v[2:3], -v[6:7]
	v_add_f64 v[185:186], v[14:15], -v[10:11]
	v_add_f64 v[187:188], v[6:7], -v[2:3]
	v_add_f64 v[189:190], v[10:11], -v[14:15]
	v_add_f64 v[191:192], v[6:7], -v[10:11]
	v_add_f64 v[168:169], v[138:139], v[18:19]
	v_add_f64 v[2:3], v[142:143], v[2:3]
	v_add_f64 v[146:147], v[18:19], -v[134:135]
	v_add_f64 v[148:149], v[22:23], -v[26:27]
	v_fma_f64 v[31:32], v[31:32], -0.5, v[142:143]
	v_fma_f64 v[33:34], v[33:34], -0.5, v[142:143]
	;; [unrolled: 1-line block ×4, first 2 shown]
	v_add_f64 v[140:141], v[140:141], v[0:1]
	v_add_f64 v[150:151], v[16:17], -v[20:21]
	v_add_f64 v[152:153], v[132:133], -v[24:25]
	;; [unrolled: 1-line block ×8, first 2 shown]
	v_fma_f64 v[142:143], v[144:145], -0.5, v[136:137]
	v_add_f64 v[20:21], v[37:38], v[20:21]
	v_fma_f64 v[37:38], v[160:161], -0.5, v[136:137]
	v_fma_f64 v[136:137], v[170:171], -0.5, v[138:139]
	;; [unrolled: 1-line block ×3, first 2 shown]
	v_add_f64 v[144:145], v[179:180], v[181:182]
	v_add_f64 v[160:161], v[183:184], v[185:186]
	;; [unrolled: 1-line block ×3, first 2 shown]
	v_add_f64 v[175:176], v[18:19], -v[22:23]
	v_fma_f64 v[195:196], v[156:157], s[12:13], v[31:32]
	v_fma_f64 v[197:198], v[158:159], s[6:7], v[33:34]
	v_fma_f64 v[33:34], v[158:159], s[12:13], v[33:34]
	v_fma_f64 v[199:200], v[162:163], s[6:7], v[35:36]
	v_fma_f64 v[31:32], v[156:157], s[6:7], v[31:32]
	v_fma_f64 v[35:36], v[162:163], s[12:13], v[35:36]
	v_fma_f64 v[177:178], v[191:192], s[12:13], v[154:155]
	v_fma_f64 v[154:155], v[191:192], s[6:7], v[154:155]
	v_add_f64 v[18:19], v[22:23], -v[18:19]
	v_add_f64 v[22:23], v[168:169], v[22:23]
	v_add_f64 v[4:5], v[140:141], v[4:5]
	;; [unrolled: 1-line block ×3, first 2 shown]
	v_add_f64 v[193:194], v[134:135], -v[26:27]
	v_add_f64 v[150:151], v[150:151], v[152:153]
	v_add_f64 v[152:153], v[164:165], v[166:167]
	;; [unrolled: 1-line block ×3, first 2 shown]
	v_fma_f64 v[6:7], v[146:147], s[6:7], v[142:143]
	v_fma_f64 v[140:141], v[146:147], s[12:13], v[142:143]
	;; [unrolled: 1-line block ×16, first 2 shown]
	v_add_f64 v[201:202], v[26:27], -v[134:135]
	v_add_f64 v[20:21], v[20:21], v[24:25]
	v_add_f64 v[22:23], v[22:23], v[26:27]
	;; [unrolled: 1-line block ×4, first 2 shown]
	v_fma_f64 v[6:7], v[148:149], s[2:3], v[6:7]
	v_fma_f64 v[8:9], v[148:149], s[14:15], v[140:141]
	;; [unrolled: 1-line block ×9, first 2 shown]
	v_add_f64 v[160:161], v[175:176], v[193:194]
	v_fma_f64 v[26:27], v[173:174], s[14:15], v[158:159]
	v_fma_f64 v[37:38], v[173:174], s[2:3], v[136:137]
	;; [unrolled: 1-line block ×7, first 2 shown]
	v_add_f64 v[18:19], v[18:19], v[201:202]
	v_add_f64 v[20:21], v[20:21], v[132:133]
	;; [unrolled: 1-line block ×5, first 2 shown]
	v_fma_f64 v[132:133], v[150:151], s[0:1], v[6:7]
	v_fma_f64 v[134:135], v[150:151], s[0:1], v[8:9]
	;; [unrolled: 1-line block ×4, first 2 shown]
	v_mul_f64 v[140:141], v[162:163], s[2:3]
	v_mul_f64 v[142:143], v[168:169], s[6:7]
	;; [unrolled: 1-line block ×8, first 2 shown]
	v_fma_f64 v[26:27], v[160:161], s[0:1], v[26:27]
	v_fma_f64 v[37:38], v[160:161], s[0:1], v[37:38]
	;; [unrolled: 1-line block ×4, first 2 shown]
	v_add_f64 v[2:3], v[22:23], v[12:13]
	v_add_f64 v[6:7], v[22:23], -v[12:13]
	v_fma_f64 v[24:25], v[156:157], s[16:17], v[140:141]
	v_fma_f64 v[136:137], v[138:139], s[0:1], v[142:143]
	;; [unrolled: 1-line block ×8, first 2 shown]
	v_add_f64 v[0:1], v[20:21], v[4:5]
	v_add_f64 v[4:5], v[20:21], -v[4:5]
	v_add_f64 v[8:9], v[132:133], v[24:25]
	v_add_f64 v[12:13], v[150:151], v[136:137]
	;; [unrolled: 1-line block ×8, first 2 shown]
	v_add_f64 v[24:25], v[132:133], -v[24:25]
	v_add_f64 v[26:27], v[26:27], -v[144:145]
	;; [unrolled: 1-line block ×8, first 2 shown]
	ds_write_b128 v28, v[0:3]
	ds_write_b128 v28, v[4:7] offset:80
	ds_write_b128 v28, v[8:11] offset:16
	;; [unrolled: 1-line block ×9, first 2 shown]
	s_waitcnt lgkmcnt(0)
	s_barrier
	buffer_gl0_inv
	ds_read_b128 v[0:3], v255 offset:2080
	ds_read_b128 v[4:7], v255 offset:4160
	;; [unrolled: 1-line block ×8, first 2 shown]
	s_waitcnt lgkmcnt(7)
	v_mul_f64 v[31:32], v[54:55], v[2:3]
	v_mul_f64 v[33:34], v[54:55], v[0:1]
	s_waitcnt lgkmcnt(6)
	v_mul_f64 v[35:36], v[50:51], v[6:7]
	v_mul_f64 v[37:38], v[50:51], v[4:5]
	s_waitcnt lgkmcnt(5)
	v_mul_f64 v[50:51], v[42:43], v[10:11]
	s_waitcnt lgkmcnt(4)
	v_mul_f64 v[54:55], v[46:47], v[12:13]
	v_mul_f64 v[42:43], v[42:43], v[8:9]
	;; [unrolled: 1-line block ×3, first 2 shown]
	s_waitcnt lgkmcnt(3)
	v_mul_f64 v[136:137], v[70:71], v[18:19]
	v_mul_f64 v[70:71], v[70:71], v[16:17]
	s_waitcnt lgkmcnt(2)
	v_mul_f64 v[138:139], v[66:67], v[22:23]
	v_mul_f64 v[66:67], v[66:67], v[20:21]
	s_waitcnt lgkmcnt(1)
	v_mul_f64 v[140:141], v[62:63], v[26:27]
	v_mul_f64 v[62:63], v[62:63], v[24:25]
	s_waitcnt lgkmcnt(0)
	v_mul_f64 v[142:143], v[58:59], v[134:135]
	v_mul_f64 v[58:59], v[58:59], v[132:133]
	v_fma_f64 v[31:32], v[52:53], v[0:1], v[31:32]
	v_fma_f64 v[33:34], v[52:53], v[2:3], -v[33:34]
	v_fma_f64 v[35:36], v[48:49], v[4:5], v[35:36]
	v_fma_f64 v[37:38], v[48:49], v[6:7], -v[37:38]
	;; [unrolled: 2-line block ×3, first 2 shown]
	v_fma_f64 v[10:11], v[40:41], v[10:11], -v[42:43]
	v_fma_f64 v[12:13], v[44:45], v[12:13], v[46:47]
	v_fma_f64 v[16:17], v[68:69], v[16:17], v[136:137]
	v_fma_f64 v[18:19], v[68:69], v[18:19], -v[70:71]
	v_fma_f64 v[20:21], v[64:65], v[20:21], v[138:139]
	v_fma_f64 v[22:23], v[64:65], v[22:23], -v[66:67]
	v_fma_f64 v[24:25], v[60:61], v[24:25], v[140:141]
	v_fma_f64 v[26:27], v[60:61], v[26:27], -v[62:63]
	v_fma_f64 v[44:45], v[56:57], v[132:133], v[142:143]
	v_fma_f64 v[46:47], v[56:57], v[134:135], -v[58:59]
	ds_read_b128 v[0:3], v255
	ds_read_b128 v[4:7], v255 offset:1040
	s_waitcnt lgkmcnt(0)
	s_barrier
	buffer_gl0_inv
	v_add_f64 v[52:53], v[31:32], -v[35:36]
	v_add_f64 v[58:59], v[35:36], -v[31:32]
	v_add_f64 v[41:42], v[35:36], v[8:9]
	v_add_f64 v[132:133], v[33:34], v[14:15]
	;; [unrolled: 1-line block ×4, first 2 shown]
	v_add_f64 v[48:49], v[33:34], -v[14:15]
	v_add_f64 v[50:51], v[37:38], -v[10:11]
	;; [unrolled: 1-line block ×4, first 2 shown]
	v_add_f64 v[136:137], v[20:21], v[24:25]
	v_add_f64 v[144:145], v[22:23], v[26:27]
	;; [unrolled: 1-line block ×6, first 2 shown]
	v_add_f64 v[31:32], v[31:32], -v[12:13]
	v_add_f64 v[66:67], v[35:36], -v[8:9]
	;; [unrolled: 1-line block ×6, first 2 shown]
	v_add_f64 v[138:139], v[4:5], v[16:17]
	v_add_f64 v[142:143], v[18:19], -v[46:47]
	v_add_f64 v[148:149], v[22:23], -v[26:27]
	;; [unrolled: 1-line block ×5, first 2 shown]
	v_add_f64 v[158:159], v[6:7], v[18:19]
	v_add_f64 v[16:17], v[16:17], -v[44:45]
	v_add_f64 v[160:161], v[20:21], -v[24:25]
	v_fma_f64 v[41:42], v[41:42], -0.5, v[0:1]
	v_fma_f64 v[0:1], v[56:57], -0.5, v[0:1]
	;; [unrolled: 1-line block ×5, first 2 shown]
	v_add_f64 v[35:36], v[39:40], v[35:36]
	v_fma_f64 v[4:5], v[140:141], -0.5, v[4:5]
	v_fma_f64 v[39:40], v[144:145], -0.5, v[6:7]
	;; [unrolled: 1-line block ×3, first 2 shown]
	v_add_f64 v[156:157], v[24:25], -v[44:45]
	v_add_f64 v[162:163], v[18:19], -v[22:23]
	;; [unrolled: 1-line block ×5, first 2 shown]
	v_add_f64 v[52:53], v[52:53], v[54:55]
	v_add_f64 v[54:55], v[58:59], v[60:61]
	;; [unrolled: 1-line block ×8, first 2 shown]
	v_fma_f64 v[68:69], v[48:49], s[6:7], v[41:42]
	v_fma_f64 v[41:42], v[48:49], s[12:13], v[41:42]
	v_fma_f64 v[70:71], v[50:51], s[12:13], v[0:1]
	v_fma_f64 v[0:1], v[50:51], s[6:7], v[0:1]
	v_fma_f64 v[134:135], v[31:32], s[12:13], v[64:65]
	v_fma_f64 v[64:65], v[31:32], s[6:7], v[64:65]
	v_fma_f64 v[138:139], v[66:67], s[6:7], v[2:3]
	v_fma_f64 v[2:3], v[66:67], s[12:13], v[2:3]
	v_fma_f64 v[140:141], v[142:143], s[6:7], v[136:137]
	v_fma_f64 v[136:137], v[142:143], s[12:13], v[136:137]
	v_fma_f64 v[144:145], v[148:149], s[12:13], v[4:5]
	v_fma_f64 v[4:5], v[148:149], s[6:7], v[4:5]
	v_fma_f64 v[146:147], v[16:17], s[12:13], v[39:40]
	v_fma_f64 v[150:151], v[160:161], s[6:7], v[6:7]
	v_fma_f64 v[6:7], v[160:161], s[12:13], v[6:7]
	v_fma_f64 v[39:40], v[16:17], s[6:7], v[39:40]
	v_add_f64 v[62:63], v[154:155], v[156:157]
	v_add_f64 v[152:153], v[162:163], v[56:57]
	;; [unrolled: 1-line block ×7, first 2 shown]
	v_fma_f64 v[24:25], v[50:51], s[2:3], v[68:69]
	v_fma_f64 v[26:27], v[50:51], s[14:15], v[41:42]
	;; [unrolled: 1-line block ×16, first 2 shown]
	v_add_f64 v[40:41], v[8:9], v[12:13]
	v_add_f64 v[42:43], v[10:11], v[14:15]
	;; [unrolled: 1-line block ×4, first 2 shown]
	v_fma_f64 v[136:137], v[52:53], s[0:1], v[24:25]
	v_fma_f64 v[52:53], v[52:53], s[0:1], v[26:27]
	;; [unrolled: 1-line block ×16, first 2 shown]
	ds_write_b128 v30, v[40:43]
	ds_write_b128 v30, v[136:139] offset:160
	ds_write_b128 v30, v[132:135] offset:320
	;; [unrolled: 1-line block ×4, first 2 shown]
	ds_write_b128 v29, v[44:47]
	ds_write_b128 v29, v[48:51] offset:160
	ds_write_b128 v29, v[56:59] offset:320
	;; [unrolled: 1-line block ×4, first 2 shown]
	s_waitcnt lgkmcnt(0)
	s_barrier
	buffer_gl0_inv
	s_and_saveexec_b32 s0, vcc_lo
	s_cbranch_execz .LBB0_7
; %bb.6:
	ds_read_b128 v[40:43], v255
	ds_read_b128 v[136:139], v255 offset:800
	ds_read_b128 v[132:135], v255 offset:1600
	ds_read_b128 v[68:71], v255 offset:2400
	ds_read_b128 v[52:55], v255 offset:3200
	ds_read_b128 v[44:47], v255 offset:4000
	ds_read_b128 v[48:51], v255 offset:4800
	ds_read_b128 v[56:59], v255 offset:5600
	ds_read_b128 v[60:63], v255 offset:6400
	ds_read_b128 v[64:67], v255 offset:7200
	ds_read_b128 v[120:123], v255 offset:8000
	ds_read_b128 v[128:131], v255 offset:8800
	ds_read_b128 v[124:127], v255 offset:9600
.LBB0_7:
	s_or_b32 exec_lo, exec_lo, s0
	s_and_saveexec_b32 s33, vcc_lo
	s_cbranch_execz .LBB0_9
; %bb.8:
	s_waitcnt lgkmcnt(11)
	v_mul_f64 v[0:1], v[78:79], v[138:139]
	s_waitcnt lgkmcnt(0)
	v_mul_f64 v[2:3], v[86:87], v[126:127]
	v_mul_f64 v[4:5], v[78:79], v[136:137]
	;; [unrolled: 1-line block ×15, first 2 shown]
	s_mov_b32 s20, 0x4bc48dbf
	s_mov_b32 s21, 0xbfcea1e5
	v_mul_f64 v[36:37], v[74:75], v[54:55]
	v_mul_f64 v[38:39], v[106:107], v[66:67]
	;; [unrolled: 1-line block ×3, first 2 shown]
	s_mov_b32 s14, 0x93053d00
	v_fma_f64 v[86:87], v[76:77], v[136:137], v[0:1]
	v_fma_f64 v[78:79], v[84:85], v[124:125], v[2:3]
	v_fma_f64 v[90:91], v[76:77], v[138:139], -v[4:5]
	v_fma_f64 v[76:77], v[84:85], v[126:127], -v[6:7]
	v_mul_f64 v[4:5], v[98:99], v[70:71]
	v_mul_f64 v[6:7], v[102:103], v[122:123]
	v_fma_f64 v[82:83], v[108:109], v[132:133], v[8:9]
	v_fma_f64 v[0:1], v[112:113], v[128:129], v[10:11]
	v_fma_f64 v[84:85], v[108:109], v[134:135], -v[12:13]
	v_fma_f64 v[2:3], v[112:113], v[130:131], -v[14:15]
	v_mul_f64 v[98:99], v[106:107], v[64:65]
	s_mov_b32 s27, 0x3fddbe06
	s_mov_b32 s26, 0x4267c47c
	;; [unrolled: 1-line block ×3, first 2 shown]
	v_fma_f64 v[70:71], v[96:97], v[70:71], -v[16:17]
	v_mul_f64 v[30:31], v[118:119], v[62:63]
	v_mul_f64 v[34:35], v[118:119], v[60:61]
	v_fma_f64 v[106:107], v[88:89], v[56:57], v[22:23]
	v_fma_f64 v[118:119], v[72:73], v[52:53], v[36:37]
	;; [unrolled: 1-line block ×3, first 2 shown]
	s_mov_b32 s24, 0x24c2f84
	s_mov_b32 s25, 0xbfe5384d
	;; [unrolled: 1-line block ×3, first 2 shown]
	v_add_f64 v[8:9], v[86:87], -v[78:79]
	v_add_f64 v[10:11], v[86:87], v[78:79]
	v_add_f64 v[18:19], v[90:91], -v[76:77]
	v_fma_f64 v[68:69], v[96:97], v[68:69], v[4:5]
	v_fma_f64 v[4:5], v[100:101], v[120:121], v[6:7]
	v_fma_f64 v[6:7], v[100:101], v[122:123], -v[94:95]
	v_add_f64 v[16:17], v[82:83], -v[0:1]
	v_add_f64 v[12:13], v[90:91], v[76:77]
	v_add_f64 v[14:15], v[84:85], -v[2:3]
	v_fma_f64 v[120:121], v[72:73], v[54:55], -v[74:75]
	v_fma_f64 v[54:55], v[104:105], v[66:67], -v[98:99]
	v_add_f64 v[98:99], v[84:85], v[2:3]
	v_add_f64 v[94:95], v[82:83], v[0:1]
	s_mov_b32 s13, 0x3fec55a7
	v_fma_f64 v[110:111], v[80:81], v[48:49], v[20:21]
	v_fma_f64 v[24:25], v[92:93], v[44:45], v[24:25]
	v_fma_f64 v[114:115], v[92:93], v[46:47], -v[32:33]
	v_fma_f64 v[20:21], v[116:117], v[62:63], -v[34:35]
	v_add_f64 v[92:93], v[118:119], -v[52:53]
	s_mov_b32 s6, 0x66966769
	s_mov_b32 s16, 0xd0032e0c
	;; [unrolled: 1-line block ×3, first 2 shown]
	v_mul_f64 v[96:97], v[8:9], s[20:21]
	v_mul_f64 v[48:49], v[8:9], s[24:25]
	v_mul_f64 v[100:101], v[18:19], s[20:21]
	v_mul_f64 v[122:123], v[18:19], s[24:25]
	v_add_f64 v[102:103], v[68:69], -v[4:5]
	v_add_f64 v[104:105], v[70:71], -v[6:7]
	v_mul_f64 v[36:37], v[16:17], s[26:27]
	v_add_f64 v[62:63], v[68:69], v[4:5]
	v_mul_f64 v[38:39], v[14:15], s[26:27]
	s_mov_b32 s17, 0xbfe7f3cc
	s_mov_b32 s28, 0x42a4c3d2
	;; [unrolled: 1-line block ×3, first 2 shown]
	v_mul_f64 v[34:35], v[16:17], s[6:7]
	v_mul_f64 v[44:45], v[14:15], s[6:7]
	v_fma_f64 v[26:27], v[80:81], v[50:51], -v[26:27]
	v_fma_f64 v[112:113], v[88:89], v[58:59], -v[28:29]
	v_add_f64 v[58:59], v[118:119], v[52:53]
	v_add_f64 v[80:81], v[114:115], -v[20:21]
	v_mul_f64 v[28:29], v[92:93], s[28:29]
	s_mov_b32 s0, 0xebaa3ed8
	s_mov_b32 s1, 0x3fbedb7d
	;; [unrolled: 1-line block ×3, first 2 shown]
	v_fma_f64 v[22:23], v[12:13], s[14:15], v[96:97]
	v_fma_f64 v[64:65], v[12:13], s[14:15], -v[96:97]
	v_fma_f64 v[66:67], v[10:11], s[14:15], v[100:101]
	v_fma_f64 v[56:57], v[10:11], s[14:15], -v[100:101]
	v_fma_f64 v[96:97], v[116:117], v[60:61], v[30:31]
	v_add_f64 v[60:61], v[70:71], v[6:7]
	v_add_f64 v[100:101], v[120:121], -v[54:55]
	v_mul_f64 v[30:31], v[102:103], s[24:25]
	v_mul_f64 v[32:33], v[104:105], s[24:25]
	v_fma_f64 v[46:47], v[98:99], s[12:13], v[36:37]
	v_fma_f64 v[72:73], v[94:95], s[12:13], -v[38:39]
	v_fma_f64 v[36:37], v[98:99], s[12:13], -v[36:37]
	v_fma_f64 v[38:39], v[94:95], s[12:13], v[38:39]
	v_fma_f64 v[74:75], v[12:13], s[16:17], v[48:49]
	v_fma_f64 v[108:109], v[10:11], s[16:17], -v[122:123]
	s_mov_b32 s30, s28
	s_mov_b32 s18, 0x2ef20147
	;; [unrolled: 1-line block ×5, first 2 shown]
	v_mul_f64 v[128:129], v[104:105], s[30:31]
	v_fma_f64 v[134:135], v[98:99], s[0:1], v[34:35]
	v_add_f64 v[116:117], v[42:43], v[22:23]
	v_add_f64 v[64:65], v[42:43], v[64:65]
	;; [unrolled: 1-line block ×4, first 2 shown]
	v_add_f64 v[22:23], v[24:25], -v[96:97]
	v_add_f64 v[56:57], v[120:121], v[54:55]
	v_mul_f64 v[50:51], v[100:101], s[28:29]
	v_fma_f64 v[130:131], v[60:61], s[16:17], v[30:31]
	v_fma_f64 v[132:133], v[62:63], s[16:17], -v[32:33]
	v_fma_f64 v[30:31], v[60:61], s[16:17], -v[30:31]
	v_fma_f64 v[32:33], v[62:63], s[16:17], v[32:33]
	v_fma_f64 v[136:137], v[94:95], s[0:1], -v[44:45]
	v_mul_f64 v[126:127], v[102:103], s[30:31]
	v_add_f64 v[138:139], v[42:43], v[74:75]
	v_add_f64 v[140:141], v[40:41], v[108:109]
	v_add_f64 v[88:89], v[110:111], -v[106:107]
	v_add_f64 v[108:109], v[26:27], -v[112:113]
	v_add_f64 v[74:75], v[24:25], v[96:97]
	v_mul_f64 v[142:143], v[80:81], s[18:19]
	v_fma_f64 v[48:49], v[12:13], s[16:17], -v[48:49]
	s_mov_b32 s37, 0x3fcea1e5
	s_mov_b32 s36, s20
	v_add_f64 v[46:47], v[46:47], v[116:117]
	v_add_f64 v[36:37], v[36:37], v[64:65]
	;; [unrolled: 1-line block ×5, first 2 shown]
	v_mul_f64 v[124:125], v[22:23], s[18:19]
	v_fma_f64 v[148:149], v[56:57], s[22:23], v[28:29]
	v_fma_f64 v[150:151], v[58:59], s[22:23], -v[50:51]
	v_fma_f64 v[28:29], v[56:57], s[22:23], -v[28:29]
	v_fma_f64 v[50:51], v[58:59], s[22:23], v[50:51]
	s_mov_b32 s2, 0xb2365da1
	s_mov_b32 s3, 0xbfd6b1d8
	v_mul_f64 v[146:147], v[100:101], s[36:37]
	v_fma_f64 v[154:155], v[62:63], s[22:23], -v[128:129]
	v_add_f64 v[134:135], v[134:135], v[138:139]
	v_add_f64 v[136:137], v[136:137], v[140:141]
	v_mul_f64 v[138:139], v[8:9], s[18:19]
	v_mul_f64 v[144:145], v[92:93], s[36:37]
	v_fma_f64 v[152:153], v[60:61], s[22:23], v[126:127]
	v_add_f64 v[66:67], v[26:27], v[112:113]
	v_add_f64 v[64:65], v[110:111], v[106:107]
	v_mul_f64 v[140:141], v[18:19], s[18:19]
	v_add_f64 v[46:47], v[130:131], v[46:47]
	v_add_f64 v[30:31], v[30:31], v[36:37]
	;; [unrolled: 1-line block ×4, first 2 shown]
	v_mul_f64 v[36:37], v[88:89], s[6:7]
	v_mul_f64 v[38:39], v[108:109], s[6:7]
	v_fma_f64 v[156:157], v[72:73], s[2:3], v[124:125]
	v_fma_f64 v[158:159], v[74:75], s[2:3], -v[142:143]
	v_fma_f64 v[124:125], v[72:73], s[2:3], -v[124:125]
	v_fma_f64 v[142:143], v[74:75], s[2:3], v[142:143]
	v_fma_f64 v[34:35], v[98:99], s[0:1], -v[34:35]
	v_add_f64 v[48:49], v[42:43], v[48:49]
	s_mov_b32 s39, 0x3fe5384d
	s_mov_b32 s38, s24
	;; [unrolled: 1-line block ×4, first 2 shown]
	v_fma_f64 v[162:163], v[58:59], s[14:15], -v[146:147]
	v_add_f64 v[136:137], v[154:155], v[136:137]
	v_fma_f64 v[154:155], v[12:13], s[2:3], v[138:139]
	v_fma_f64 v[160:161], v[56:57], s[14:15], v[144:145]
	v_add_f64 v[134:135], v[152:153], v[134:135]
	v_fma_f64 v[166:167], v[10:11], s[2:3], -v[140:141]
	v_add_f64 v[46:47], v[148:149], v[46:47]
	v_add_f64 v[28:29], v[28:29], v[30:31]
	;; [unrolled: 1-line block ×3, first 2 shown]
	v_fma_f64 v[50:51], v[10:11], s[16:17], v[122:123]
	v_add_f64 v[116:117], v[150:151], v[116:117]
	v_mul_f64 v[122:123], v[16:17], s[38:39]
	v_mul_f64 v[150:151], v[14:15], s[38:39]
	v_fma_f64 v[152:153], v[66:67], s[0:1], v[36:37]
	v_fma_f64 v[164:165], v[64:65], s[0:1], -v[38:39]
	v_fma_f64 v[36:37], v[66:67], s[0:1], -v[36:37]
	v_fma_f64 v[38:39], v[64:65], s[0:1], v[38:39]
	v_fma_f64 v[126:127], v[60:61], s[22:23], -v[126:127]
	v_add_f64 v[34:35], v[34:35], v[48:49]
	v_mul_f64 v[130:131], v[22:23], s[26:27]
	v_mul_f64 v[132:133], v[80:81], s[26:27]
	v_fma_f64 v[138:139], v[12:13], s[2:3], -v[138:139]
	v_fma_f64 v[140:141], v[10:11], s[2:3], v[140:141]
	v_add_f64 v[136:137], v[162:163], v[136:137]
	v_add_f64 v[154:155], v[42:43], v[154:155]
	;; [unrolled: 1-line block ×4, first 2 shown]
	v_mul_f64 v[160:161], v[104:105], s[26:27]
	v_add_f64 v[46:47], v[156:157], v[46:47]
	v_add_f64 v[28:29], v[124:125], v[28:29]
	;; [unrolled: 1-line block ×3, first 2 shown]
	v_mul_f64 v[124:125], v[8:9], s[34:35]
	v_fma_f64 v[142:143], v[94:95], s[0:1], v[44:45]
	v_add_f64 v[156:157], v[40:41], v[50:51]
	v_add_f64 v[116:117], v[158:159], v[116:117]
	v_mul_f64 v[158:159], v[102:103], s[26:27]
	v_fma_f64 v[162:163], v[98:99], s[16:17], v[122:123]
	v_fma_f64 v[175:176], v[94:95], s[16:17], -v[150:151]
	v_add_f64 v[166:167], v[40:41], v[166:167]
	v_add_f64 v[86:87], v[40:41], v[86:87]
	;; [unrolled: 1-line block ×3, first 2 shown]
	v_mul_f64 v[126:127], v[18:19], s[34:35]
	v_fma_f64 v[168:169], v[72:73], s[12:13], v[130:131]
	v_fma_f64 v[170:171], v[74:75], s[12:13], -v[132:133]
	s_mov_b32 s41, 0x3fedeba7
	s_mov_b32 s40, s18
	v_fma_f64 v[122:123], v[98:99], s[16:17], -v[122:123]
	v_add_f64 v[138:139], v[42:43], v[138:139]
	v_fma_f64 v[150:151], v[94:95], s[16:17], v[150:151]
	v_add_f64 v[140:141], v[40:41], v[140:141]
	v_add_f64 v[46:47], v[152:153], v[46:47]
	;; [unrolled: 1-line block ×4, first 2 shown]
	v_fma_f64 v[28:29], v[62:63], s[22:23], v[128:129]
	v_mul_f64 v[30:31], v[16:17], s[20:21]
	v_fma_f64 v[36:37], v[12:13], s[0:1], v[124:125]
	v_add_f64 v[38:39], v[142:143], v[156:157]
	v_add_f64 v[44:45], v[164:165], v[116:117]
	v_fma_f64 v[116:117], v[56:57], s[14:15], -v[144:145]
	v_mul_f64 v[128:129], v[92:93], s[34:35]
	v_fma_f64 v[142:143], v[60:61], s[12:13], v[158:159]
	v_add_f64 v[144:145], v[162:163], v[154:155]
	v_mul_f64 v[152:153], v[100:101], s[34:35]
	v_fma_f64 v[154:155], v[62:63], s[12:13], -v[160:161]
	v_add_f64 v[156:157], v[175:176], v[166:167]
	v_fma_f64 v[146:147], v[58:59], s[14:15], v[146:147]
	v_mul_f64 v[162:163], v[102:103], s[40:41]
	v_fma_f64 v[166:167], v[10:11], s[0:1], -v[126:127]
	v_add_f64 v[84:85], v[90:91], v[84:85]
	v_add_f64 v[82:83], v[86:87], v[82:83]
	v_fma_f64 v[90:91], v[12:13], s[0:1], -v[124:125]
	v_add_f64 v[134:135], v[168:169], v[134:135]
	v_add_f64 v[136:137], v[170:171], v[136:137]
	v_mul_f64 v[168:169], v[22:23], s[36:37]
	v_add_f64 v[86:87], v[122:123], v[138:139]
	v_add_f64 v[122:123], v[150:151], v[140:141]
	v_fma_f64 v[164:165], v[98:99], s[14:15], v[30:31]
	v_add_f64 v[36:37], v[42:43], v[36:37]
	v_add_f64 v[28:29], v[28:29], v[38:39]
	v_fma_f64 v[38:39], v[72:73], s[12:13], -v[130:131]
	v_mul_f64 v[130:131], v[14:15], s[20:21]
	v_fma_f64 v[170:171], v[56:57], s[0:1], v[128:129]
	v_add_f64 v[34:35], v[116:117], v[34:35]
	v_add_f64 v[142:143], v[142:143], v[144:145]
	v_mul_f64 v[144:145], v[80:81], s[36:37]
	v_fma_f64 v[175:176], v[58:59], s[0:1], -v[152:153]
	v_add_f64 v[154:155], v[154:155], v[156:157]
	v_fma_f64 v[156:157], v[60:61], s[12:13], -v[158:159]
	v_fma_f64 v[138:139], v[60:61], s[2:3], v[162:163]
	v_mul_f64 v[140:141], v[104:105], s[40:41]
	v_add_f64 v[150:151], v[40:41], v[166:167]
	v_add_f64 v[70:71], v[84:85], v[70:71]
	;; [unrolled: 1-line block ×3, first 2 shown]
	v_fma_f64 v[30:31], v[98:99], s[14:15], -v[30:31]
	v_add_f64 v[84:85], v[42:43], v[90:91]
	v_fma_f64 v[116:117], v[62:63], s[12:13], v[160:161]
	v_fma_f64 v[160:161], v[72:73], s[14:15], v[168:169]
	v_fma_f64 v[128:129], v[56:57], s[0:1], -v[128:129]
	v_fma_f64 v[124:125], v[74:75], s[12:13], v[132:133]
	v_add_f64 v[36:37], v[164:165], v[36:37]
	v_add_f64 v[28:29], v[146:147], v[28:29]
	v_mul_f64 v[132:133], v[92:93], s[26:27]
	v_fma_f64 v[146:147], v[94:95], s[14:15], -v[130:131]
	v_mul_f64 v[164:165], v[108:109], s[28:29]
	v_add_f64 v[34:35], v[38:39], v[34:35]
	v_add_f64 v[142:143], v[170:171], v[142:143]
	v_fma_f64 v[166:167], v[74:75], s[14:15], -v[144:145]
	v_mul_f64 v[38:39], v[100:101], s[26:27]
	v_add_f64 v[154:155], v[175:176], v[154:155]
	v_add_f64 v[82:83], v[156:157], v[86:87]
	v_mul_f64 v[156:157], v[88:89], s[26:27]
	v_fma_f64 v[86:87], v[58:59], s[0:1], v[152:153]
	v_mul_f64 v[32:33], v[88:89], s[18:19]
	v_add_f64 v[70:71], v[70:71], v[120:121]
	v_add_f64 v[68:69], v[68:69], v[118:119]
	v_fma_f64 v[118:119], v[60:61], s[2:3], -v[162:163]
	v_add_f64 v[30:31], v[30:31], v[84:85]
	v_fma_f64 v[84:85], v[74:75], s[14:15], v[144:145]
	v_fma_f64 v[120:121], v[10:11], s[0:1], v[126:127]
	v_add_f64 v[90:91], v[116:117], v[122:123]
	v_mul_f64 v[116:117], v[22:23], s[30:31]
	v_add_f64 v[36:37], v[138:139], v[36:37]
	v_fma_f64 v[138:139], v[62:63], s[2:3], -v[140:141]
	v_fma_f64 v[122:123], v[56:57], s[12:13], v[132:133]
	v_add_f64 v[146:147], v[146:147], v[150:151]
	v_fma_f64 v[132:133], v[56:57], s[12:13], -v[132:133]
	v_fma_f64 v[150:151], v[64:65], s[22:23], -v[164:165]
	v_add_f64 v[142:143], v[160:161], v[142:143]
	v_mul_f64 v[160:161], v[108:109], s[26:27]
	s_mov_b32 s27, 0xbfddbe06
	v_add_f64 v[152:153], v[166:167], v[154:155]
	v_fma_f64 v[154:155], v[72:73], s[14:15], -v[168:169]
	v_add_f64 v[82:83], v[128:129], v[82:83]
	v_fma_f64 v[144:145], v[58:59], s[12:13], -v[38:39]
	v_fma_f64 v[140:141], v[62:63], s[2:3], v[140:141]
	v_add_f64 v[70:71], v[70:71], v[114:115]
	v_add_f64 v[24:25], v[68:69], v[24:25]
	v_mul_f64 v[68:69], v[18:19], s[26:27]
	v_mul_f64 v[18:19], v[18:19], s[30:31]
	v_add_f64 v[30:31], v[118:119], v[30:31]
	v_fma_f64 v[118:119], v[94:95], s[14:15], v[130:131]
	v_add_f64 v[120:121], v[40:41], v[120:121]
	v_fma_f64 v[114:115], v[64:65], s[22:23], v[164:165]
	v_mul_f64 v[164:165], v[14:15], s[18:19]
	v_mul_f64 v[14:15], v[14:15], s[30:31]
	;; [unrolled: 1-line block ×3, first 2 shown]
	v_add_f64 v[138:139], v[138:139], v[146:147]
	v_mul_f64 v[146:147], v[8:9], s[30:31]
	v_mul_f64 v[8:9], v[8:9], s[26:27]
	v_fma_f64 v[38:39], v[58:59], s[12:13], v[38:39]
	v_mul_f64 v[158:159], v[88:89], s[28:29]
	v_add_f64 v[86:87], v[86:87], v[90:91]
	v_mul_f64 v[90:91], v[88:89], s[24:25]
	v_fma_f64 v[126:127], v[72:73], s[22:23], v[116:117]
	v_add_f64 v[82:83], v[154:155], v[82:83]
	v_mul_f64 v[154:155], v[16:17], s[18:19]
	v_mul_f64 v[16:17], v[16:17], s[30:31]
	v_add_f64 v[26:27], v[70:71], v[26:27]
	v_add_f64 v[24:25], v[24:25], v[110:111]
	v_fma_f64 v[70:71], v[10:11], s[12:13], v[68:69]
	v_fma_f64 v[110:111], v[10:11], s[22:23], v[18:19]
	v_add_f64 v[30:31], v[132:133], v[30:31]
	v_fma_f64 v[18:19], v[10:11], s[22:23], -v[18:19]
	v_fma_f64 v[10:11], v[10:11], s[12:13], -v[68:69]
	v_add_f64 v[118:119], v[118:119], v[120:121]
	v_mul_f64 v[120:121], v[102:103], s[20:21]
	v_mul_f64 v[102:103], v[102:103], s[34:35]
	v_fma_f64 v[168:169], v[94:95], s[22:23], v[14:15]
	v_add_f64 v[138:139], v[144:145], v[138:139]
	v_fma_f64 v[162:163], v[12:13], s[22:23], -v[146:147]
	v_fma_f64 v[144:145], v[12:13], s[12:13], -v[8:9]
	v_fma_f64 v[132:133], v[12:13], s[22:23], v[146:147]
	v_fma_f64 v[8:9], v[12:13], s[12:13], v[8:9]
	v_mul_f64 v[12:13], v[104:105], s[20:21]
	v_mul_f64 v[104:105], v[104:105], s[34:35]
	v_fma_f64 v[14:15], v[94:95], s[22:23], -v[14:15]
	v_add_f64 v[36:37], v[122:123], v[36:37]
	v_fma_f64 v[68:69], v[98:99], s[2:3], -v[154:155]
	v_fma_f64 v[166:167], v[98:99], s[22:23], -v[16:17]
	v_add_f64 v[26:27], v[26:27], v[112:113]
	v_add_f64 v[24:25], v[24:25], v[106:107]
	;; [unrolled: 1-line block ×4, first 2 shown]
	v_fma_f64 v[112:113], v[98:99], s[2:3], v[154:155]
	v_add_f64 v[18:19], v[40:41], v[18:19]
	v_fma_f64 v[16:17], v[98:99], s[22:23], v[16:17]
	v_add_f64 v[10:11], v[40:41], v[10:11]
	v_mul_f64 v[110:111], v[92:93], s[38:39]
	v_mul_f64 v[154:155], v[100:101], s[38:39]
	;; [unrolled: 1-line block ×3, first 2 shown]
	v_fma_f64 v[98:99], v[60:61], s[0:1], -v[102:103]
	v_add_f64 v[146:147], v[42:43], v[162:163]
	v_add_f64 v[144:145], v[42:43], v[144:145]
	v_fma_f64 v[162:163], v[94:95], s[2:3], v[164:165]
	v_add_f64 v[132:133], v[42:43], v[132:133]
	v_fma_f64 v[164:165], v[94:95], s[2:3], -v[164:165]
	v_add_f64 v[8:9], v[42:43], v[8:9]
	v_mul_f64 v[94:95], v[100:101], s[18:19]
	v_fma_f64 v[40:41], v[60:61], s[14:15], -v[120:121]
	v_mul_f64 v[122:123], v[108:109], s[24:25]
	v_fma_f64 v[116:117], v[72:73], s[22:23], -v[116:117]
	v_add_f64 v[20:21], v[26:27], v[20:21]
	v_add_f64 v[24:25], v[24:25], v[96:97]
	v_add_f64 v[26:27], v[168:169], v[70:71]
	v_mul_f64 v[96:97], v[22:23], s[6:7]
	v_mul_f64 v[22:23], v[22:23], s[24:25]
	;; [unrolled: 1-line block ×3, first 2 shown]
	v_fma_f64 v[130:131], v[74:75], s[22:23], -v[128:129]
	v_add_f64 v[10:11], v[14:15], v[10:11]
	v_fma_f64 v[14:15], v[56:57], s[16:17], -v[110:111]
	v_add_f64 v[84:85], v[84:85], v[86:87]
	v_fma_f64 v[86:87], v[66:67], s[16:17], v[90:91]
	v_add_f64 v[28:29], v[124:125], v[28:29]
	v_add_f64 v[42:43], v[68:69], v[146:147]
	v_add_f64 v[100:101], v[166:167], v[144:145]
	v_fma_f64 v[144:145], v[62:63], s[0:1], v[104:105]
	v_fma_f64 v[68:69], v[62:63], s[14:15], v[12:13]
	v_add_f64 v[70:71], v[162:163], v[106:107]
	v_fma_f64 v[106:107], v[60:61], s[14:15], v[120:121]
	v_add_f64 v[112:113], v[112:113], v[132:133]
	v_fma_f64 v[12:13], v[62:63], s[14:15], -v[12:13]
	v_add_f64 v[18:19], v[164:165], v[18:19]
	v_fma_f64 v[60:61], v[60:61], s[0:1], v[102:103]
	v_add_f64 v[8:9], v[16:17], v[8:9]
	v_fma_f64 v[16:17], v[62:63], s[0:1], -v[104:105]
	v_mul_f64 v[120:121], v[80:81], s[6:7]
	v_mul_f64 v[62:63], v[80:81], s[24:25]
	v_fma_f64 v[80:81], v[56:57], s[2:3], -v[92:93]
	v_add_f64 v[20:21], v[20:21], v[54:55]
	v_add_f64 v[24:25], v[24:25], v[52:53]
	v_add_f64 v[54:55], v[140:141], v[118:119]
	v_fma_f64 v[104:105], v[58:59], s[16:17], -v[154:155]
	v_add_f64 v[30:31], v[116:117], v[30:31]
	v_fma_f64 v[124:125], v[66:67], s[22:23], v[158:159]
	v_fma_f64 v[158:159], v[66:67], s[22:23], -v[158:159]
	v_add_f64 v[40:41], v[40:41], v[42:43]
	v_add_f64 v[98:99], v[98:99], v[100:101]
	v_fma_f64 v[100:101], v[58:59], s[2:3], v[94:95]
	v_add_f64 v[26:27], v[144:145], v[26:27]
	v_fma_f64 v[42:43], v[58:59], s[16:17], v[154:155]
	;; [unrolled: 2-line block ×3, first 2 shown]
	v_add_f64 v[102:103], v[106:107], v[112:113]
	v_add_f64 v[12:13], v[12:13], v[18:19]
	v_fma_f64 v[18:19], v[56:57], s[2:3], v[92:93]
	v_add_f64 v[8:9], v[60:61], v[8:9]
	v_fma_f64 v[56:57], v[58:59], s[2:3], -v[94:95]
	v_add_f64 v[10:11], v[16:17], v[10:11]
	v_mul_f64 v[58:59], v[88:89], s[20:21]
	v_fma_f64 v[88:89], v[72:73], s[16:17], -v[22:23]
	v_add_f64 v[6:7], v[20:21], v[6:7]
	v_add_f64 v[4:5], v[24:25], v[4:5]
	v_mul_f64 v[60:61], v[108:109], s[20:21]
	v_fma_f64 v[92:93], v[74:75], s[16:17], v[62:63]
	v_fma_f64 v[16:17], v[72:73], s[0:1], -v[96:97]
	v_fma_f64 v[68:69], v[74:75], s[22:23], v[128:129]
	v_fma_f64 v[22:23], v[72:73], s[16:17], v[22:23]
	v_add_f64 v[14:15], v[14:15], v[40:41]
	v_add_f64 v[80:81], v[80:81], v[98:99]
	v_fma_f64 v[40:41], v[74:75], s[0:1], v[120:121]
	v_add_f64 v[20:21], v[100:101], v[26:27]
	v_add_f64 v[26:27], v[38:39], v[54:55]
	;; [unrolled: 1-line block ×3, first 2 shown]
	v_fma_f64 v[42:43], v[72:73], s[0:1], v[96:97]
	v_add_f64 v[52:53], v[70:71], v[102:103]
	v_fma_f64 v[54:55], v[74:75], s[0:1], -v[120:121]
	v_add_f64 v[12:13], v[104:105], v[12:13]
	v_add_f64 v[8:9], v[18:19], v[8:9]
	v_fma_f64 v[18:19], v[74:75], s[16:17], -v[62:63]
	v_add_f64 v[10:11], v[56:57], v[10:11]
	v_fma_f64 v[38:39], v[66:67], s[16:17], -v[90:91]
	v_fma_f64 v[72:73], v[66:67], s[14:15], -v[58:59]
	;; [unrolled: 1-line block ×3, first 2 shown]
	v_add_f64 v[90:91], v[4:5], v[0:1]
	v_fma_f64 v[70:71], v[64:65], s[12:13], v[160:161]
	v_fma_f64 v[56:57], v[64:65], s[16:17], v[122:123]
	;; [unrolled: 1-line block ×3, first 2 shown]
	v_fma_f64 v[177:178], v[64:65], s[2:3], -v[148:149]
	v_fma_f64 v[32:33], v[66:67], s[2:3], -v[32:33]
	v_add_f64 v[16:17], v[16:17], v[14:15]
	v_add_f64 v[74:75], v[88:89], v[80:81]
	;; [unrolled: 1-line block ×3, first 2 shown]
	v_fma_f64 v[80:81], v[64:65], s[14:15], v[60:61]
	v_add_f64 v[20:21], v[92:93], v[20:21]
	v_add_f64 v[40:41], v[40:41], v[24:25]
	;; [unrolled: 1-line block ×3, first 2 shown]
	v_fma_f64 v[148:149], v[64:65], s[2:3], v[148:149]
	v_add_f64 v[36:37], v[126:127], v[36:37]
	v_fma_f64 v[126:127], v[64:65], s[16:17], -v[122:123]
	v_add_f64 v[92:93], v[130:131], v[138:139]
	v_fma_f64 v[94:95], v[66:67], s[12:13], v[156:157]
	v_add_f64 v[52:53], v[42:43], v[52:53]
	v_fma_f64 v[96:97], v[64:65], s[12:13], -v[160:161]
	v_add_f64 v[98:99], v[54:55], v[12:13]
	;; [unrolled: 4-line block ×3, first 2 shown]
	v_add_f64 v[24:25], v[90:91], v[78:79]
	v_add_f64 v[14:15], v[38:39], v[30:31]
	;; [unrolled: 1-line block ×22, first 2 shown]
	v_lshl_add_u32 v32, v239, 4, v244
	ds_write_b128 v255, v[24:27]
	ds_write_b128 v32, v[20:23] offset:800
	ds_write_b128 v32, v[16:19] offset:1600
	;; [unrolled: 1-line block ×12, first 2 shown]
.LBB0_9:
	s_or_b32 exec_lo, exec_lo, s33
	s_waitcnt lgkmcnt(0)
	s_barrier
	buffer_gl0_inv
	ds_read_b128 v[0:3], v255
	ds_read_b128 v[4:7], v255 offset:1040
	ds_read_b128 v[8:11], v255 offset:2080
	;; [unrolled: 1-line block ×9, first 2 shown]
	s_clause 0x3
	buffer_load_dword v86, off, s[44:47], 0 offset:48
	buffer_load_dword v87, off, s[44:47], 0 offset:52
	;; [unrolled: 1-line block ×4, first 2 shown]
	v_mad_u64_u32 v[32:33], null, s10, v172, 0
	v_mad_u64_u32 v[34:35], null, s8, v239, 0
	s_clause 0xb
	buffer_load_dword v82, off, s[44:47], 0 offset:32
	buffer_load_dword v83, off, s[44:47], 0 offset:36
	;; [unrolled: 1-line block ×8, first 2 shown]
	buffer_load_dword v74, off, s[44:47], 0
	buffer_load_dword v75, off, s[44:47], 0 offset:4
	buffer_load_dword v76, off, s[44:47], 0 offset:8
	;; [unrolled: 1-line block ×3, first 2 shown]
	s_mov_b32 s0, 0x7f9b2ce6
	s_mov_b32 s1, 0x3f5934c6
	s_mul_i32 s3, s9, 0x410
	v_mad_u64_u32 v[52:53], null, s11, v172, v[33:34]
	s_mul_hi_u32 s6, s8, 0x410
	s_mul_i32 s2, s8, 0x410
	s_add_i32 s6, s6, s3
	s_waitcnt lgkmcnt(9)
	v_mul_f64 v[36:37], v[242:243], v[2:3]
	v_mul_f64 v[38:39], v[242:243], v[0:1]
	s_waitcnt lgkmcnt(8)
	v_mul_f64 v[48:49], v[249:250], v[6:7]
	v_mov_b32_e32 v33, v52
	v_mul_f64 v[50:51], v[249:250], v[4:5]
	s_waitcnt lgkmcnt(3)
	v_mul_f64 v[62:63], v[223:224], v[26:27]
	v_mul_f64 v[64:65], v[223:224], v[24:25]
	s_waitcnt lgkmcnt(2)
	v_mul_f64 v[66:67], v[253:254], v[30:31]
	v_lshlrev_b64 v[32:33], 4, v[32:33]
	v_mul_f64 v[68:69], v[253:254], v[28:29]
	v_add_co_u32 v32, vcc_lo, s4, v32
	v_add_co_ci_u32_e32 v33, vcc_lo, s5, v33, vcc_lo
	v_mad_u64_u32 v[53:54], null, s9, v239, v[35:36]
	v_fma_f64 v[0:1], v[240:241], v[0:1], v[36:37]
	v_fma_f64 v[2:3], v[240:241], v[2:3], -v[38:39]
	v_fma_f64 v[4:5], v[247:248], v[4:5], v[48:49]
	v_fma_f64 v[6:7], v[247:248], v[6:7], -v[50:51]
	;; [unrolled: 2-line block ×3, first 2 shown]
	v_mov_b32_e32 v35, v53
	v_fma_f64 v[28:29], v[251:252], v[28:29], v[66:67]
	v_fma_f64 v[30:31], v[251:252], v[30:31], -v[68:69]
	v_lshlrev_b64 v[34:35], 4, v[34:35]
	v_add_co_u32 v32, vcc_lo, v32, v34
	v_add_co_ci_u32_e32 v33, vcc_lo, v33, v35, vcc_lo
	v_mul_f64 v[0:1], v[0:1], s[0:1]
	v_mul_f64 v[2:3], v[2:3], s[0:1]
	;; [unrolled: 1-line block ×4, first 2 shown]
	s_waitcnt vmcnt(12)
	v_mul_f64 v[54:55], v[88:89], v[10:11]
	v_mul_f64 v[56:57], v[88:89], v[8:9]
	s_clause 0x3
	buffer_load_dword v88, off, s[44:47], 0 offset:64
	buffer_load_dword v89, off, s[44:47], 0 offset:68
	buffer_load_dword v90, off, s[44:47], 0 offset:72
	buffer_load_dword v91, off, s[44:47], 0 offset:76
	s_waitcnt vmcnt(12)
	v_mul_f64 v[58:59], v[84:85], v[14:15]
	v_mul_f64 v[36:37], v[84:85], v[12:13]
	s_waitcnt vmcnt(8)
	v_mul_f64 v[38:39], v[80:81], v[18:19]
	v_mul_f64 v[48:49], v[80:81], v[16:17]
	;; [unrolled: 3-line block ×3, first 2 shown]
	v_fma_f64 v[8:9], v[86:87], v[8:9], v[54:55]
	v_fma_f64 v[10:11], v[86:87], v[10:11], -v[56:57]
	v_fma_f64 v[12:13], v[82:83], v[12:13], v[58:59]
	v_fma_f64 v[14:15], v[82:83], v[14:15], -v[36:37]
	v_add_co_u32 v36, vcc_lo, v32, s2
	v_add_co_ci_u32_e32 v37, vcc_lo, s6, v33, vcc_lo
	v_fma_f64 v[16:17], v[78:79], v[16:17], v[38:39]
	v_fma_f64 v[18:19], v[78:79], v[18:19], -v[48:49]
	v_fma_f64 v[20:21], v[74:75], v[20:21], v[50:51]
	v_fma_f64 v[22:23], v[74:75], v[22:23], -v[60:61]
	v_add_co_u32 v38, vcc_lo, v36, s2
	v_add_co_ci_u32_e32 v39, vcc_lo, s6, v37, vcc_lo
	v_mul_f64 v[8:9], v[8:9], s[0:1]
	v_mul_f64 v[10:11], v[10:11], s[0:1]
	s_waitcnt vmcnt(0) lgkmcnt(1)
	v_mul_f64 v[52:53], v[90:91], v[42:43]
	v_mul_f64 v[70:71], v[90:91], v[40:41]
	s_clause 0x3
	buffer_load_dword v90, off, s[44:47], 0 offset:80
	buffer_load_dword v91, off, s[44:47], 0 offset:84
	;; [unrolled: 1-line block ×4, first 2 shown]
	global_store_dwordx4 v[32:33], v[0:3], off
	global_store_dwordx4 v[36:37], v[4:7], off
	v_mul_f64 v[0:1], v[12:13], s[0:1]
	v_mul_f64 v[2:3], v[14:15], s[0:1]
	v_mul_f64 v[4:5], v[16:17], s[0:1]
	v_mul_f64 v[6:7], v[18:19], s[0:1]
	v_mul_f64 v[12:13], v[20:21], s[0:1]
	v_mul_f64 v[14:15], v[22:23], s[0:1]
	v_mul_f64 v[16:17], v[24:25], s[0:1]
	v_mul_f64 v[18:19], v[26:27], s[0:1]
	v_mul_f64 v[20:21], v[28:29], s[0:1]
	v_mul_f64 v[22:23], v[30:31], s[0:1]
	global_store_dwordx4 v[38:39], v[8:11], off
	v_fma_f64 v[32:33], v[88:89], v[40:41], v[52:53]
	v_fma_f64 v[36:37], v[88:89], v[42:43], -v[70:71]
	v_add_co_u32 v42, vcc_lo, v38, s2
	v_add_co_ci_u32_e32 v43, vcc_lo, s6, v39, vcc_lo
	global_store_dwordx4 v[42:43], v[0:3], off
	v_mul_f64 v[24:25], v[32:33], s[0:1]
	v_mul_f64 v[26:27], v[36:37], s[0:1]
	s_waitcnt vmcnt(0) lgkmcnt(0)
	v_mul_f64 v[72:73], v[92:93], v[46:47]
	v_mul_f64 v[34:35], v[92:93], v[44:45]
	v_fma_f64 v[40:41], v[90:91], v[44:45], v[72:73]
	v_fma_f64 v[34:35], v[90:91], v[46:47], -v[34:35]
	v_add_co_u32 v44, vcc_lo, v42, s2
	v_add_co_ci_u32_e32 v45, vcc_lo, s6, v43, vcc_lo
	v_add_co_u32 v46, vcc_lo, v44, s2
	v_add_co_ci_u32_e32 v47, vcc_lo, s6, v45, vcc_lo
	global_store_dwordx4 v[44:45], v[4:7], off
	v_add_co_u32 v32, vcc_lo, v46, s2
	v_add_co_ci_u32_e32 v33, vcc_lo, s6, v47, vcc_lo
	v_add_co_u32 v8, vcc_lo, v32, s2
	v_add_co_ci_u32_e32 v9, vcc_lo, s6, v33, vcc_lo
	v_mul_f64 v[28:29], v[40:41], s[0:1]
	v_mul_f64 v[30:31], v[34:35], s[0:1]
	v_add_co_u32 v0, vcc_lo, v8, s2
	v_add_co_ci_u32_e32 v1, vcc_lo, s6, v9, vcc_lo
	v_add_co_u32 v2, vcc_lo, v0, s2
	v_add_co_ci_u32_e32 v3, vcc_lo, s6, v1, vcc_lo
	global_store_dwordx4 v[46:47], v[12:15], off
	global_store_dwordx4 v[32:33], v[16:19], off
	;; [unrolled: 1-line block ×5, first 2 shown]
.LBB0_10:
	s_endpgm
	.section	.rodata,"a",@progbits
	.p2align	6, 0x0
	.amdhsa_kernel bluestein_single_back_len650_dim1_dp_op_CI_CI
		.amdhsa_group_segment_fixed_size 31200
		.amdhsa_private_segment_fixed_size 348
		.amdhsa_kernarg_size 104
		.amdhsa_user_sgpr_count 6
		.amdhsa_user_sgpr_private_segment_buffer 1
		.amdhsa_user_sgpr_dispatch_ptr 0
		.amdhsa_user_sgpr_queue_ptr 0
		.amdhsa_user_sgpr_kernarg_segment_ptr 1
		.amdhsa_user_sgpr_dispatch_id 0
		.amdhsa_user_sgpr_flat_scratch_init 0
		.amdhsa_user_sgpr_private_segment_size 0
		.amdhsa_wavefront_size32 1
		.amdhsa_uses_dynamic_stack 0
		.amdhsa_system_sgpr_private_segment_wavefront_offset 1
		.amdhsa_system_sgpr_workgroup_id_x 1
		.amdhsa_system_sgpr_workgroup_id_y 0
		.amdhsa_system_sgpr_workgroup_id_z 0
		.amdhsa_system_sgpr_workgroup_info 0
		.amdhsa_system_vgpr_workitem_id 0
		.amdhsa_next_free_vgpr 256
		.amdhsa_next_free_sgpr 48
		.amdhsa_reserve_vcc 1
		.amdhsa_reserve_flat_scratch 0
		.amdhsa_float_round_mode_32 0
		.amdhsa_float_round_mode_16_64 0
		.amdhsa_float_denorm_mode_32 3
		.amdhsa_float_denorm_mode_16_64 3
		.amdhsa_dx10_clamp 1
		.amdhsa_ieee_mode 1
		.amdhsa_fp16_overflow 0
		.amdhsa_workgroup_processor_mode 1
		.amdhsa_memory_ordered 1
		.amdhsa_forward_progress 0
		.amdhsa_shared_vgpr_count 0
		.amdhsa_exception_fp_ieee_invalid_op 0
		.amdhsa_exception_fp_denorm_src 0
		.amdhsa_exception_fp_ieee_div_zero 0
		.amdhsa_exception_fp_ieee_overflow 0
		.amdhsa_exception_fp_ieee_underflow 0
		.amdhsa_exception_fp_ieee_inexact 0
		.amdhsa_exception_int_div_zero 0
	.end_amdhsa_kernel
	.text
.Lfunc_end0:
	.size	bluestein_single_back_len650_dim1_dp_op_CI_CI, .Lfunc_end0-bluestein_single_back_len650_dim1_dp_op_CI_CI
                                        ; -- End function
	.section	.AMDGPU.csdata,"",@progbits
; Kernel info:
; codeLenInByte = 19424
; NumSgprs: 50
; NumVgprs: 256
; ScratchSize: 348
; MemoryBound: 0
; FloatMode: 240
; IeeeMode: 1
; LDSByteSize: 31200 bytes/workgroup (compile time only)
; SGPRBlocks: 6
; VGPRBlocks: 31
; NumSGPRsForWavesPerEU: 50
; NumVGPRsForWavesPerEU: 256
; Occupancy: 4
; WaveLimiterHint : 1
; COMPUTE_PGM_RSRC2:SCRATCH_EN: 1
; COMPUTE_PGM_RSRC2:USER_SGPR: 6
; COMPUTE_PGM_RSRC2:TRAP_HANDLER: 0
; COMPUTE_PGM_RSRC2:TGID_X_EN: 1
; COMPUTE_PGM_RSRC2:TGID_Y_EN: 0
; COMPUTE_PGM_RSRC2:TGID_Z_EN: 0
; COMPUTE_PGM_RSRC2:TIDIG_COMP_CNT: 0
	.text
	.p2alignl 6, 3214868480
	.fill 48, 4, 3214868480
	.type	__hip_cuid_22f2e5184ceb787c,@object ; @__hip_cuid_22f2e5184ceb787c
	.section	.bss,"aw",@nobits
	.globl	__hip_cuid_22f2e5184ceb787c
__hip_cuid_22f2e5184ceb787c:
	.byte	0                               ; 0x0
	.size	__hip_cuid_22f2e5184ceb787c, 1

	.ident	"AMD clang version 19.0.0git (https://github.com/RadeonOpenCompute/llvm-project roc-6.4.0 25133 c7fe45cf4b819c5991fe208aaa96edf142730f1d)"
	.section	".note.GNU-stack","",@progbits
	.addrsig
	.addrsig_sym __hip_cuid_22f2e5184ceb787c
	.amdgpu_metadata
---
amdhsa.kernels:
  - .args:
      - .actual_access:  read_only
        .address_space:  global
        .offset:         0
        .size:           8
        .value_kind:     global_buffer
      - .actual_access:  read_only
        .address_space:  global
        .offset:         8
        .size:           8
        .value_kind:     global_buffer
      - .actual_access:  read_only
        .address_space:  global
        .offset:         16
        .size:           8
        .value_kind:     global_buffer
      - .actual_access:  read_only
        .address_space:  global
        .offset:         24
        .size:           8
        .value_kind:     global_buffer
      - .actual_access:  read_only
        .address_space:  global
        .offset:         32
        .size:           8
        .value_kind:     global_buffer
      - .offset:         40
        .size:           8
        .value_kind:     by_value
      - .address_space:  global
        .offset:         48
        .size:           8
        .value_kind:     global_buffer
      - .address_space:  global
        .offset:         56
        .size:           8
        .value_kind:     global_buffer
      - .address_space:  global
        .offset:         64
        .size:           8
        .value_kind:     global_buffer
      - .address_space:  global
        .offset:         72
        .size:           8
        .value_kind:     global_buffer
      - .offset:         80
        .size:           4
        .value_kind:     by_value
      - .address_space:  global
        .offset:         88
        .size:           8
        .value_kind:     global_buffer
      - .address_space:  global
        .offset:         96
        .size:           8
        .value_kind:     global_buffer
    .group_segment_fixed_size: 31200
    .kernarg_segment_align: 8
    .kernarg_segment_size: 104
    .language:       OpenCL C
    .language_version:
      - 2
      - 0
    .max_flat_workgroup_size: 195
    .name:           bluestein_single_back_len650_dim1_dp_op_CI_CI
    .private_segment_fixed_size: 348
    .sgpr_count:     50
    .sgpr_spill_count: 0
    .symbol:         bluestein_single_back_len650_dim1_dp_op_CI_CI.kd
    .uniform_work_group_size: 1
    .uses_dynamic_stack: false
    .vgpr_count:     256
    .vgpr_spill_count: 92
    .wavefront_size: 32
    .workgroup_processor_mode: 1
amdhsa.target:   amdgcn-amd-amdhsa--gfx1030
amdhsa.version:
  - 1
  - 2
...

	.end_amdgpu_metadata
